;; amdgpu-corpus repo=ROCm/rocFFT kind=compiled arch=gfx1030 opt=O3
	.text
	.amdgcn_target "amdgcn-amd-amdhsa--gfx1030"
	.amdhsa_code_object_version 6
	.protected	bluestein_single_back_len330_dim1_half_op_CI_CI ; -- Begin function bluestein_single_back_len330_dim1_half_op_CI_CI
	.globl	bluestein_single_back_len330_dim1_half_op_CI_CI
	.p2align	8
	.type	bluestein_single_back_len330_dim1_half_op_CI_CI,@function
bluestein_single_back_len330_dim1_half_op_CI_CI: ; @bluestein_single_back_len330_dim1_half_op_CI_CI
; %bb.0:
	s_load_dwordx4 s[0:3], s[4:5], 0x28
	v_mul_u32_u24_e32 v1, 0x7c2, v0
	v_lshrrev_b32_e32 v1, 16, v1
	v_mad_u64_u32 v[8:9], null, s6, 3, v[1:2]
	v_mov_b32_e32 v9, 0
	s_waitcnt lgkmcnt(0)
	v_cmp_gt_u64_e32 vcc_lo, s[0:1], v[8:9]
	s_and_saveexec_b32 s0, vcc_lo
	s_cbranch_execz .LBB0_23
; %bb.1:
	v_mul_hi_u32 v2, 0xaaaaaaab, v8
	s_clause 0x1
	s_load_dwordx2 s[20:21], s[4:5], 0x0
	s_load_dwordx2 s[12:13], s[4:5], 0x38
	v_mul_lo_u16 v1, v1, 33
	v_sub_nc_u16 v0, v0, v1
	v_lshrrev_b32_e32 v2, 1, v2
	v_and_b32_e32 v32, 0xffff, v0
	v_lshl_add_u32 v2, v2, 1, v2
	v_cmp_gt_u16_e32 vcc_lo, 30, v0
	v_lshlrev_b32_e32 v31, 2, v32
	v_sub_nc_u32_e32 v1, v8, v2
	v_mul_u32_u24_e32 v33, 0x14a, v1
	v_lshlrev_b32_e32 v34, 2, v33
	s_and_saveexec_b32 s1, vcc_lo
	s_cbranch_execz .LBB0_3
; %bb.2:
	s_load_dwordx2 s[6:7], s[4:5], 0x18
	v_lshl_add_u32 v25, v32, 2, v34
	v_add_nc_u32_e32 v28, v34, v31
	s_waitcnt lgkmcnt(0)
	s_load_dwordx4 s[8:11], s[6:7], 0x0
	s_waitcnt lgkmcnt(0)
	v_mad_u64_u32 v[0:1], null, s10, v8, 0
	v_mad_u64_u32 v[2:3], null, s8, v32, 0
	s_mul_i32 s6, s9, 0x78
	s_mul_hi_u32 s7, s8, 0x78
	s_add_i32 s7, s7, s6
	v_mad_u64_u32 v[4:5], null, s11, v8, v[1:2]
	v_mad_u64_u32 v[5:6], null, s9, v32, v[3:4]
	v_mov_b32_e32 v1, v4
	v_lshlrev_b64 v[0:1], 2, v[0:1]
	v_mov_b32_e32 v3, v5
	s_clause 0x1
	global_load_dword v4, v31, s[20:21]
	global_load_dword v5, v31, s[20:21] offset:120
	v_add_co_u32 v0, s0, s2, v0
	v_lshlrev_b64 v[2:3], 2, v[2:3]
	v_add_co_ci_u32_e64 v1, s0, s3, v1, s0
	s_mul_i32 s2, s8, 0x78
	v_add_co_u32 v0, s0, v0, v2
	v_add_co_ci_u32_e64 v1, s0, v1, v3, s0
	v_add_co_u32 v2, s0, v0, s2
	v_add_co_ci_u32_e64 v3, s0, s7, v1, s0
	s_clause 0x1
	global_load_dword v6, v[0:1], off
	global_load_dword v7, v[2:3], off
	v_add_co_u32 v0, s0, v2, s2
	v_add_co_ci_u32_e64 v1, s0, s7, v3, s0
	v_add_co_u32 v2, s0, v0, s2
	v_add_co_ci_u32_e64 v3, s0, s7, v1, s0
	global_load_dword v9, v[0:1], off
	v_add_co_u32 v0, s0, v2, s2
	v_add_co_ci_u32_e64 v1, s0, s7, v3, s0
	s_clause 0x1
	global_load_dword v10, v31, s[20:21] offset:240
	global_load_dword v11, v31, s[20:21] offset:360
	s_clause 0x1
	global_load_dword v12, v[2:3], off
	global_load_dword v13, v[0:1], off
	v_add_co_u32 v0, s0, v0, s2
	v_add_co_ci_u32_e64 v1, s0, s7, v1, s0
	s_clause 0x3
	global_load_dword v14, v31, s[20:21] offset:480
	global_load_dword v15, v31, s[20:21] offset:600
	global_load_dword v16, v31, s[20:21] offset:720
	global_load_dword v17, v31, s[20:21] offset:840
	v_add_co_u32 v2, s0, v0, s2
	v_add_co_ci_u32_e64 v3, s0, s7, v1, s0
	global_load_dword v18, v[0:1], off
	v_add_co_u32 v0, s0, v2, s2
	v_add_co_ci_u32_e64 v1, s0, s7, v3, s0
	global_load_dword v19, v[2:3], off
	;; [unrolled: 3-line block ×4, first 2 shown]
	v_add_co_u32 v2, s0, v0, s2
	v_add_co_ci_u32_e64 v3, s0, s7, v1, s0
	global_load_dword v22, v31, s[20:21] offset:960
	global_load_dword v0, v[0:1], off
	global_load_dword v1, v[2:3], off
	s_clause 0x1
	global_load_dword v2, v31, s[20:21] offset:1080
	global_load_dword v3, v31, s[20:21] offset:1200
	s_waitcnt vmcnt(19)
	v_lshrrev_b32_e32 v23, 16, v6
	v_mul_f16_sdwa v24, v4, v6 dst_sel:DWORD dst_unused:UNUSED_PAD src0_sel:WORD_1 src1_sel:DWORD
	s_waitcnt vmcnt(18)
	v_lshrrev_b32_e32 v27, 16, v7
	v_mul_f16_sdwa v26, v4, v23 dst_sel:DWORD dst_unused:UNUSED_PAD src0_sel:WORD_1 src1_sel:DWORD
	v_fma_f16 v23, v4, v23, -v24
	v_mul_f16_sdwa v24, v5, v7 dst_sel:DWORD dst_unused:UNUSED_PAD src0_sel:WORD_1 src1_sel:DWORD
	v_fmac_f16_e32 v26, v4, v6
	v_mul_f16_sdwa v4, v5, v27 dst_sel:DWORD dst_unused:UNUSED_PAD src0_sel:WORD_1 src1_sel:DWORD
	v_fma_f16 v24, v5, v27, -v24
	s_waitcnt vmcnt(17)
	v_lshrrev_b32_e32 v6, 16, v9
	s_waitcnt vmcnt(16)
	v_mul_f16_sdwa v29, v10, v9 dst_sel:DWORD dst_unused:UNUSED_PAD src0_sel:WORD_1 src1_sel:DWORD
	v_fmac_f16_e32 v4, v5, v7
	s_waitcnt vmcnt(14)
	v_lshrrev_b32_e32 v7, 16, v12
	v_mul_f16_sdwa v5, v10, v6 dst_sel:DWORD dst_unused:UNUSED_PAD src0_sel:WORD_1 src1_sel:DWORD
	v_pack_b32_f16 v23, v26, v23
	v_fma_f16 v6, v10, v6, -v29
	v_mul_f16_sdwa v26, v11, v12 dst_sel:DWORD dst_unused:UNUSED_PAD src0_sel:WORD_1 src1_sel:DWORD
	v_pack_b32_f16 v4, v4, v24
	v_fmac_f16_e32 v5, v10, v9
	v_mul_f16_sdwa v9, v11, v7 dst_sel:DWORD dst_unused:UNUSED_PAD src0_sel:WORD_1 src1_sel:DWORD
	s_waitcnt vmcnt(13)
	v_lshrrev_b32_e32 v10, 16, v13
	ds_write_b32 v25, v23
	v_fma_f16 v7, v11, v7, -v26
	s_waitcnt vmcnt(12)
	v_mul_f16_sdwa v23, v14, v13 dst_sel:DWORD dst_unused:UNUSED_PAD src0_sel:WORD_1 src1_sel:DWORD
	v_pack_b32_f16 v5, v5, v6
	v_fmac_f16_e32 v9, v11, v12
	v_mul_f16_sdwa v6, v14, v10 dst_sel:DWORD dst_unused:UNUSED_PAD src0_sel:WORD_1 src1_sel:DWORD
	s_waitcnt vmcnt(8)
	v_lshrrev_b32_e32 v11, 16, v18
	v_mul_f16_sdwa v12, v15, v18 dst_sel:DWORD dst_unused:UNUSED_PAD src0_sel:WORD_1 src1_sel:DWORD
	v_fma_f16 v10, v14, v10, -v23
	v_pack_b32_f16 v7, v9, v7
	v_fmac_f16_e32 v6, v14, v13
	v_mul_f16_sdwa v9, v15, v11 dst_sel:DWORD dst_unused:UNUSED_PAD src0_sel:WORD_1 src1_sel:DWORD
	v_fma_f16 v11, v15, v11, -v12
	s_waitcnt vmcnt(7)
	v_lshrrev_b32_e32 v12, 16, v19
	v_mul_f16_sdwa v13, v16, v19 dst_sel:DWORD dst_unused:UNUSED_PAD src0_sel:WORD_1 src1_sel:DWORD
	v_pack_b32_f16 v6, v6, v10
	v_fmac_f16_e32 v9, v15, v18
	s_waitcnt vmcnt(6)
	v_lshrrev_b32_e32 v10, 16, v20
	v_mul_f16_sdwa v14, v16, v12 dst_sel:DWORD dst_unused:UNUSED_PAD src0_sel:WORD_1 src1_sel:DWORD
	v_fma_f16 v12, v16, v12, -v13
	v_mul_f16_sdwa v13, v17, v20 dst_sel:DWORD dst_unused:UNUSED_PAD src0_sel:WORD_1 src1_sel:DWORD
	v_pack_b32_f16 v9, v9, v11
	v_mul_f16_sdwa v11, v17, v10 dst_sel:DWORD dst_unused:UNUSED_PAD src0_sel:WORD_1 src1_sel:DWORD
	s_waitcnt vmcnt(5)
	v_lshrrev_b32_e32 v15, 16, v21
	v_fmac_f16_e32 v14, v16, v19
	v_fma_f16 v10, v17, v10, -v13
	s_waitcnt vmcnt(4)
	v_mul_f16_sdwa v13, v22, v21 dst_sel:DWORD dst_unused:UNUSED_PAD src0_sel:WORD_1 src1_sel:DWORD
	s_waitcnt vmcnt(3)
	v_lshrrev_b32_e32 v16, 16, v0
	s_waitcnt vmcnt(2)
	v_lshrrev_b32_e32 v18, 16, v1
	v_fmac_f16_e32 v11, v17, v20
	v_mul_f16_sdwa v17, v22, v15 dst_sel:DWORD dst_unused:UNUSED_PAD src0_sel:WORD_1 src1_sel:DWORD
	v_fma_f16 v13, v22, v15, -v13
	s_waitcnt vmcnt(1)
	v_mul_f16_sdwa v15, v2, v0 dst_sel:DWORD dst_unused:UNUSED_PAD src0_sel:WORD_1 src1_sel:DWORD
	v_mul_f16_sdwa v19, v2, v16 dst_sel:DWORD dst_unused:UNUSED_PAD src0_sel:WORD_1 src1_sel:DWORD
	s_waitcnt vmcnt(0)
	v_mul_f16_sdwa v20, v3, v1 dst_sel:DWORD dst_unused:UNUSED_PAD src0_sel:WORD_1 src1_sel:DWORD
	v_mul_f16_sdwa v23, v3, v18 dst_sel:DWORD dst_unused:UNUSED_PAD src0_sel:WORD_1 src1_sel:DWORD
	v_fmac_f16_e32 v17, v22, v21
	v_fma_f16 v15, v2, v16, -v15
	v_fmac_f16_e32 v19, v2, v0
	v_fma_f16 v0, v3, v18, -v20
	v_fmac_f16_e32 v23, v3, v1
	v_pack_b32_f16 v1, v14, v12
	v_pack_b32_f16 v2, v11, v10
	;; [unrolled: 1-line block ×5, first 2 shown]
	v_add_nc_u32_e32 v11, 0x400, v28
	ds_write2_b32 v28, v4, v5 offset0:30 offset1:60
	ds_write2_b32 v28, v7, v6 offset0:90 offset1:120
	ds_write2_b32 v28, v9, v1 offset0:150 offset1:180
	ds_write2_b32 v28, v2, v3 offset0:210 offset1:240
	ds_write2_b32 v11, v10, v0 offset0:14 offset1:44
.LBB0_3:
	s_or_b32 exec_lo, exec_lo, s1
	s_load_dwordx2 s[0:1], s[4:5], 0x20
	v_mov_b32_e32 v0, 0
	s_waitcnt lgkmcnt(0)
	s_barrier
	buffer_gl0_inv
                                        ; implicit-def: $vgpr9
                                        ; implicit-def: $vgpr3
                                        ; implicit-def: $vgpr5
                                        ; implicit-def: $vgpr7
                                        ; implicit-def: $vgpr12
	s_and_saveexec_b32 s2, vcc_lo
	s_cbranch_execz .LBB0_5
; %bb.4:
	v_lshl_add_u32 v9, v33, 2, v31
	v_add_nc_u32_e32 v2, 0x200, v9
	ds_read2_b32 v[0:1], v9 offset1:30
	ds_read2_b32 v[11:12], v9 offset0:60 offset1:90
	ds_read2_b32 v[6:7], v9 offset0:120 offset1:150
	ds_read2_b32 v[4:5], v9 offset0:180 offset1:210
	ds_read2_b32 v[2:3], v2 offset0:112 offset1:142
	ds_read_b32 v9, v9 offset:1200
.LBB0_5:
	s_or_b32 exec_lo, exec_lo, s2
	s_waitcnt lgkmcnt(0)
	v_pk_add_f16 v13, v1, v9 neg_lo:[0,1] neg_hi:[0,1]
	v_mov_b32_e32 v46, 0xb853
	v_pk_add_f16 v18, v9, v1
	v_pk_add_f16 v14, v11, v3 neg_lo:[0,1] neg_hi:[0,1]
	v_mov_b32_e32 v44, 0xbb47
	v_pk_add_f16 v19, v3, v11
	v_mul_f16_sdwa v28, v13, v46 dst_sel:DWORD dst_unused:UNUSED_PAD src0_sel:WORD_1 src1_sel:DWORD
	v_lshrrev_b32_e32 v23, 16, v18
	v_mul_f16_e32 v40, 0xb853, v13
	v_pk_add_f16 v15, v12, v2 neg_lo:[0,1] neg_hi:[0,1]
	v_mul_f16_sdwa v29, v14, v44 dst_sel:DWORD dst_unused:UNUSED_PAD src0_sel:WORD_1 src1_sel:DWORD
	v_fmamk_f16 v10, v18, 0x3abb, v28
	v_mov_b32_e32 v17, 0xbbeb
	v_lshrrev_b32_e32 v25, 16, v19
	v_fma_f16 v16, v23, 0x3abb, -v40
	v_fmamk_f16 v21, v19, 0x36a6, v29
	v_add_f16_e32 v10, v10, v0
	v_mul_f16_e32 v42, 0xbb47, v14
	v_pk_add_f16 v20, v2, v12
	v_mul_f16_sdwa v35, v15, v17 dst_sel:DWORD dst_unused:UNUSED_PAD src0_sel:WORD_1 src1_sel:DWORD
	v_add_f16_sdwa v26, v16, v0 dst_sel:DWORD dst_unused:UNUSED_PAD src0_sel:DWORD src1_sel:WORD_1
	v_add_f16_e32 v10, v21, v10
	v_fma_f16 v17, v25, 0x36a6, -v42
	v_lshrrev_b32_e32 v24, 16, v20
	v_mul_f16_e32 v43, 0xbbeb, v15
	v_fmamk_f16 v21, v20, 0xb08e, v35
	v_pk_add_f16 v16, v6, v5 neg_lo:[0,1] neg_hi:[0,1]
	v_mov_b32_e32 v45, 0xba0c
	v_pk_add_f16 v22, v5, v6
	s_load_dwordx2 s[2:3], s[4:5], 0x8
	v_add_f16_e32 v27, v17, v26
	v_add_f16_e32 v10, v21, v10
	v_fma_f16 v30, v24, 0xb08e, -v43
	v_mul_f16_sdwa v37, v16, v45 dst_sel:DWORD dst_unused:UNUSED_PAD src0_sel:WORD_1 src1_sel:DWORD
	v_lshrrev_b32_e32 v26, 16, v22
	v_mul_f16_e32 v41, 0xba0c, v16
	v_pk_add_f16 v17, v7, v4 neg_lo:[0,1] neg_hi:[0,1]
	v_mov_b32_e32 v47, 0xb482
	v_pk_add_f16 v21, v4, v7
	v_add_f16_e32 v30, v30, v27
	v_fmamk_f16 v36, v22, 0xb93d, v37
	v_fma_f16 v48, v26, 0xb93d, -v41
	v_mul_f16_sdwa v38, v17, v47 dst_sel:DWORD dst_unused:UNUSED_PAD src0_sel:WORD_1 src1_sel:DWORD
	v_lshrrev_b32_e32 v27, 16, v21
	v_mul_f16_e32 v39, 0xb482, v17
	v_add_f16_e32 v10, v36, v10
	v_add_f16_e32 v30, v48, v30
	v_fmamk_f16 v36, v21, 0xbbad, v38
	s_waitcnt lgkmcnt(0)
	v_fma_f16 v48, v27, 0xbbad, -v39
	s_barrier
	buffer_gl0_inv
	v_add_f16_e32 v10, v36, v10
	v_mul_lo_u16 v36, v32, 11
	v_add_f16_e32 v30, v48, v30
	s_and_saveexec_b32 s4, vcc_lo
	s_cbranch_execz .LBB0_7
; %bb.6:
	v_mul_f16_e32 v48, 0xba0c, v13
	v_mul_f16_e32 v49, 0x3beb, v14
	;; [unrolled: 1-line block ×3, first 2 shown]
	v_mul_f16_sdwa v51, v13, v45 dst_sel:DWORD dst_unused:UNUSED_PAD src0_sel:WORD_1 src1_sel:DWORD
	v_mov_b32_e32 v52, 0x3beb
	v_fmamk_f16 v53, v23, 0xb93d, v48
	v_fmamk_f16 v55, v25, 0xb08e, v49
	v_mul_f16_e32 v54, 0xb482, v16
	v_fma_f16 v56, v18, 0xb93d, -v51
	v_mul_f16_sdwa v57, v14, v52 dst_sel:DWORD dst_unused:UNUSED_PAD src0_sel:WORD_1 src1_sel:DWORD
	v_add_f16_sdwa v53, v53, v0 dst_sel:DWORD dst_unused:UNUSED_PAD src0_sel:DWORD src1_sel:WORD_1
	v_fmamk_f16 v58, v24, 0x3abb, v50
	v_mul_f16_sdwa v46, v15, v46 dst_sel:DWORD dst_unused:UNUSED_PAD src0_sel:WORD_1 src1_sel:DWORD
	v_add_f16_e32 v56, v56, v0
	v_fma_f16 v59, v19, 0xb08e, -v57
	v_add_f16_e32 v53, v55, v53
	v_mul_f16_e32 v55, 0xbbeb, v13
	v_fmamk_f16 v60, v26, 0xbbad, v54
	v_mul_f16_e32 v62, 0x36a6, v27
	v_mov_b32_e32 v63, 0x3b47
	v_add_f16_e32 v53, v58, v53
	v_mul_f16_sdwa v47, v16, v47 dst_sel:DWORD dst_unused:UNUSED_PAD src0_sel:WORD_1 src1_sel:DWORD
	v_fma_f16 v61, v20, 0x3abb, -v46
	v_add_f16_e32 v56, v59, v56
	v_fmamk_f16 v58, v23, 0xb08e, v55
	v_mul_f16_e32 v59, 0x3482, v14
	v_add_f16_e32 v53, v60, v53
	v_mul_f16_sdwa v60, v17, v63 dst_sel:DWORD dst_unused:UNUSED_PAD src0_sel:WORD_1 src1_sel:DWORD
	v_fmamk_f16 v63, v17, 0x3b47, v62
	v_mul_f16_sdwa v44, v13, v44 dst_sel:DWORD dst_unused:UNUSED_PAD src0_sel:WORD_1 src1_sel:DWORD
	v_fma_f16 v64, v22, 0xbbad, -v47
	v_add_f16_sdwa v58, v58, v0 dst_sel:DWORD dst_unused:UNUSED_PAD src0_sel:DWORD src1_sel:WORD_1
	v_fmamk_f16 v65, v25, 0xbbad, v59
	v_mul_f16_e32 v66, 0x3b47, v15
	v_add_f16_e32 v56, v61, v56
	v_add_f16_e32 v53, v63, v53
	v_fma_f16 v63, v18, 0x36a6, -v44
	v_mul_f16_sdwa v45, v14, v45 dst_sel:DWORD dst_unused:UNUSED_PAD src0_sel:WORD_1 src1_sel:DWORD
	v_mul_f16_e32 v67, 0x3abb, v23
	v_add_f16_e32 v58, v65, v58
	v_fmamk_f16 v61, v24, 0x36a6, v66
	v_mul_f16_e32 v65, 0xb853, v16
	v_add_f16_e32 v56, v64, v56
	v_fma_f16 v64, v21, 0x36a6, -v60
	v_add_f16_e32 v63, v63, v0
	v_fma_f16 v68, v19, 0xb93d, -v45
	v_mul_f16_e32 v70, 0x36a6, v25
	v_add_f16_e32 v40, v40, v67
	v_add_f16_e32 v58, v61, v58
	v_fmamk_f16 v61, v26, 0x3abb, v65
	v_add_f16_e32 v56, v64, v56
	v_mul_f16_e32 v64, 0xba0c, v17
	v_add_f16_e32 v63, v68, v63
	v_add_f16_e32 v42, v42, v70
	v_add_f16_sdwa v40, v40, v0 dst_sel:DWORD dst_unused:UNUSED_PAD src0_sel:DWORD src1_sel:WORD_1
	v_mul_f16_e32 v68, 0xb08e, v24
	v_add_f16_e32 v58, v61, v58
	v_fmamk_f16 v69, v27, 0xb93d, v64
	v_fmac_f16_e32 v51, 0xb93d, v18
	v_add_f16_e32 v40, v42, v40
	v_add_f16_e32 v42, v43, v68
	v_mul_f16_e32 v43, 0x3abb, v18
	v_add_f16_e32 v58, v69, v58
	v_mul_f16_e32 v69, 0x36a6, v19
	v_mul_f16_e32 v68, 0xb93d, v26
	v_add_f16_e32 v40, v42, v40
	v_sub_f16_e32 v28, v43, v28
	v_mul_f16_e32 v43, 0xb08e, v20
	v_sub_f16_e32 v29, v69, v29
	v_add_f16_e32 v41, v41, v68
	v_mul_f16_e32 v68, 0xbbad, v27
	v_add_f16_e32 v28, v28, v0
	v_pk_add_f16 v1, v1, v0
	v_fmac_f16_e32 v57, 0xb08e, v19
	v_add_f16_e32 v40, v41, v40
	v_add_f16_e32 v39, v39, v68
	;; [unrolled: 1-line block ×3, first 2 shown]
	v_sub_f16_e32 v29, v43, v35
	v_mul_f16_e32 v35, 0xb93d, v22
	v_fma_f16 v43, v23, 0xb93d, -v48
	v_add_f16_e32 v48, v51, v0
	v_pk_add_f16 v1, v11, v1
	v_add_f16_e32 v28, v29, v28
	v_sub_f16_e32 v29, v35, v37
	v_mul_f16_e32 v37, 0xbbad, v21
	v_add_f16_e32 v35, v39, v40
	v_add_f16_sdwa v39, v43, v0 dst_sel:DWORD dst_unused:UNUSED_PAD src0_sel:DWORD src1_sel:WORD_1
	v_fma_f16 v40, v25, 0xb08e, -v49
	v_fma_f16 v23, v23, 0xb08e, -v55
	v_sub_f16_e32 v37, v37, v38
	v_pk_mul_f16 v38, 0x36a6b08e, v18
	v_add_f16_e32 v48, v57, v48
	v_fmac_f16_e32 v46, 0x3abb, v20
	v_pk_add_f16 v1, v12, v1
	v_add_f16_e32 v28, v29, v28
	v_add_f16_e32 v39, v40, v39
	v_pk_mul_f16 v40, 0xb93dbbad, v19
	v_add_f16_sdwa v23, v23, v0 dst_sel:DWORD dst_unused:UNUSED_PAD src0_sel:DWORD src1_sel:WORD_1
	v_fma_f16 v25, v25, 0xbbad, -v59
	v_add_f16_e32 v46, v46, v48
	v_pk_fma_f16 v48, 0xbbebbb47, v13, v38 op_sel:[0,0,1] op_sel_hi:[1,1,0]
	v_pk_add_f16 v1, v6, v1
	v_fma_f16 v43, v24, 0x3abb, -v50
	v_add_f16_e32 v28, v37, v28
	v_pk_mul_f16 v37, 0xbbad36a6, v20
	v_fmac_f16_e32 v47, 0xbbad, v22
	v_add_f16_e32 v23, v25, v23
	v_fma_f16 v24, v24, 0x36a6, -v66
	v_fma_f16 v25, v26, 0xbbad, -v54
	v_alignbit_b32 v51, s0, v48, 16
	v_pk_fma_f16 v54, 0x3482ba0c, v14, v40 op_sel:[0,0,1] op_sel_hi:[1,1,0]
	v_pk_add_f16 v1, v7, v1
	v_add_f16_e32 v46, v47, v46
	v_add_f16_e32 v23, v24, v23
	v_fma_f16 v24, v26, 0x3abb, -v65
	v_pk_add_f16 v26, v51, v0
	v_alignbit_b32 v47, s0, v54, 16
	v_pk_fma_f16 v51, 0x3b473482, v15, v37 op_sel:[0,0,1] op_sel_hi:[1,1,0]
	v_pk_fma_f16 v38, 0xbbebbb47, v13, v38 op_sel:[0,0,1] op_sel_hi:[1,1,0] neg_lo:[0,1,0] neg_hi:[0,1,0]
	v_pk_add_f16 v1, v4, v1
	v_mov_b32_e32 v61, 0x3482
	v_pk_add_f16 v26, v47, v26
	v_alignbit_b32 v11, s0, v51, 16
	v_pk_fma_f16 v12, 0x3482ba0c, v14, v40 op_sel:[0,0,1] op_sel_hi:[1,1,0] neg_lo:[0,1,0] neg_hi:[0,1,0]
	v_pk_add_f16 v1, v5, v1
	v_bfi_b32 v5, 0xffff, v48, v38
	v_mul_f16_sdwa v61, v15, v61 dst_sel:DWORD dst_unused:UNUSED_PAD src0_sel:WORD_1 src1_sel:DWORD
	v_add_f16_e32 v39, v43, v39
	v_pk_mul_f16 v43, 0xb08e3abb, v22
	v_add_f16_e32 v23, v24, v23
	v_fma_f16 v24, v27, 0xb93d, -v64
	v_pk_add_f16 v11, v11, v26
	v_pk_fma_f16 v26, 0x3b473482, v15, v37 op_sel:[0,0,1] op_sel_hi:[1,1,0] neg_lo:[0,1,0] neg_hi:[0,1,0]
	v_pk_add_f16 v1, v2, v1
	v_pk_add_f16 v2, v5, v0 op_sel:[0,1] op_sel_hi:[1,0]
	v_bfi_b32 v5, 0xffff, v54, v12
	v_fma_f16 v67, v20, 0xbbad, -v61
	v_mul_f16_sdwa v52, v16, v52 dst_sel:DWORD dst_unused:UNUSED_PAD src0_sel:WORD_1 src1_sel:DWORD
	v_add_f16_e32 v23, v24, v23
	v_add_f16_sdwa v24, v38, v0 dst_sel:DWORD dst_unused:UNUSED_PAD src0_sel:DWORD src1_sel:WORD_1
	v_fmac_f16_e32 v44, 0x36a6, v18
	v_pk_fma_f16 v6, 0xb8533beb, v16, v43 op_sel:[0,0,1] op_sel_hi:[1,1,0]
	v_pk_fma_f16 v40, 0xb8533beb, v16, v43 op_sel:[0,0,1] op_sel_hi:[1,1,0] neg_lo:[0,1,0] neg_hi:[0,1,0]
	v_pk_add_f16 v1, v3, v1
	v_pk_add_f16 v2, v5, v2
	v_bfi_b32 v3, 0xffff, v51, v26
	v_pk_mul_f16 v5, 0xbbad, v18 op_sel_hi:[0,1]
	v_add_f16_e32 v63, v67, v63
	v_fma_f16 v67, v22, 0xb08e, -v52
	v_pk_mul_f16 v49, 0x3abbb93d, v21
	v_add_f16_e32 v24, v12, v24
	v_add_f16_e32 v37, v44, v0
	v_fmac_f16_e32 v45, 0xb93d, v19
	v_and_b32_e32 v12, 0xffff, v36
	v_pk_add_f16 v1, v9, v1
	v_pk_add_f16 v2, v3, v2
	v_pk_fma_f16 v3, 0xb482, v13, v5 op_sel:[0,0,1] op_sel_hi:[0,1,0] neg_lo:[0,1,0] neg_hi:[0,1,0]
	v_pk_mul_f16 v9, 0x3abb, v19 op_sel_hi:[0,1]
	v_bfi_b32 v18, 0xffff, v6, v40
	v_add_f16_e32 v63, v67, v63
	v_mov_b32_e32 v67, 0x3853
	v_alignbit_b32 v7, s0, v0, 16
	v_add_f16_e32 v24, v26, v24
	v_add_f16_e32 v4, v45, v37
	v_pk_fma_f16 v37, 0xba0c3853, v17, v49 op_sel:[0,0,1] op_sel_hi:[1,1,0] neg_lo:[0,1,0] neg_hi:[0,1,0]
	v_add_lshl_u32 v12, v33, v12, 2
	v_pack_b32_f16 v19, v28, v35
	v_pk_fma_f16 v26, 0xba0c3853, v17, v49 op_sel:[0,0,1] op_sel_hi:[1,1,0]
	v_alignbit_b32 v28, s0, v3, 16
	v_pk_fma_f16 v35, 0x3853, v14, v9 op_sel:[0,0,1] op_sel_hi:[0,1,0] neg_lo:[0,1,0] neg_hi:[0,1,0]
	v_pk_add_f16 v2, v18, v2
	v_pk_mul_f16 v18, 0xb93d, v20 op_sel_hi:[0,1]
	v_pk_fma_f16 v5, 0xb482, v13, v5 op_sel:[0,0,1] op_sel_hi:[0,1,0]
	v_mul_f16_sdwa v42, v17, v67 dst_sel:DWORD dst_unused:UNUSED_PAD src0_sel:WORD_1 src1_sel:DWORD
	v_fmac_f16_e32 v61, 0xbbad, v20
	v_bfi_b32 v20, 0xffff, v26, v37
	v_pk_add_f16 v26, v28, v0
	v_alignbit_b32 v28, s0, v35, 16
	ds_write2_b32 v12, v1, v19 offset1:1
	v_pk_fma_f16 v1, 0xba0c, v15, v18 op_sel:[0,0,1] op_sel_hi:[0,1,0] neg_lo:[0,1,0] neg_hi:[0,1,0]
	v_pk_mul_f16 v19, 0x36a6, v22 op_sel_hi:[0,1]
	v_pk_add_f16 v3, v3, v7
	v_pk_add_f16 v0, v5, v0 op_sel:[0,1] op_sel_hi:[1,0]
	v_pk_fma_f16 v5, 0x3853, v14, v9 op_sel:[0,0,1] op_sel_hi:[0,1,0]
	v_fma_f16 v67, v21, 0x3abb, -v42
	v_fmac_f16_e32 v60, 0x36a6, v21
	v_fmac_f16_e32 v52, 0xb08e, v22
	;; [unrolled: 1-line block ×3, first 2 shown]
	v_pk_add_f16 v2, v20, v2
	v_pk_add_f16 v20, v28, v26
	v_alignbit_b32 v13, s0, v1, 16
	v_pk_fma_f16 v22, 0x3b47, v16, v19 op_sel:[0,0,1] op_sel_hi:[0,1,0] neg_lo:[0,1,0] neg_hi:[0,1,0]
	v_pk_mul_f16 v21, 0xb08e, v21 op_sel_hi:[0,1]
	v_pk_add_f16 v3, v35, v3
	v_pk_add_f16 v0, v5, v0
	v_pk_fma_f16 v5, 0xba0c, v15, v18 op_sel:[0,0,1] op_sel_hi:[0,1,0]
	v_mul_f16_e32 v29, 0x3b47, v17
	v_pk_mul_f16 v50, 0xba0c3853, v17
	v_lshlrev_b32_e32 v11, 16, v11
	v_pk_add_f16 v7, v13, v20
	v_alignbit_b32 v9, s0, v22, 16
	v_pk_fma_f16 v13, 0xbbeb, v17, v21 op_sel:[0,0,1] op_sel_hi:[0,1,0] neg_lo:[0,1,0] neg_hi:[0,1,0]
	v_pk_add_f16 v1, v1, v3
	v_pk_add_f16 v0, v5, v0
	v_pk_fma_f16 v3, 0x3b47, v16, v19 op_sel:[0,0,1] op_sel_hi:[0,1,0]
	v_pk_add_f16 v5, v62, v29 neg_lo:[0,1] neg_hi:[0,1]
	v_pk_add_f16 v6, v6, v11
	v_pack_b32_f16 v11, v25, v49
	v_bfi_b32 v14, 0xffff, v39, v50
	v_add_f16_e32 v4, v61, v4
	v_pk_add_f16 v7, v9, v7
	v_alignbit_b32 v9, s0, v13, 16
	v_pk_add_f16 v1, v22, v1
	v_pk_add_f16 v0, v3, v0
	v_pk_fma_f16 v3, 0xbbeb, v17, v21 op_sel:[0,0,1] op_sel_hi:[0,1,0]
	v_bfi_b32 v5, 0xffff, v5, v6
	v_pk_add_f16 v6, v11, v14
	v_add_f16_e32 v24, v40, v24
	v_add_f16_e32 v4, v52, v4
	;; [unrolled: 1-line block ×3, first 2 shown]
	v_pk_add_f16 v1, v13, v1
	v_pk_add_f16 v0, v3, v0
	;; [unrolled: 1-line block ×3, first 2 shown]
	v_add_f16_e32 v27, v60, v46
	v_pk_add_f16 v5, v5, v6
	v_add_f16_e32 v24, v37, v24
	v_add_f16_e32 v4, v42, v4
	v_alignbit_b32 v11, v58, v2, 16
	v_pack_b32_f16 v2, v41, v2
	v_pack_b32_f16 v6, v56, v53
	v_alignbit_b32 v1, v1, v0, 16
	v_pack_b32_f16 v0, v3, v0
	v_alignbit_b32 v3, v23, v5, 16
	v_pack_b32_f16 v5, v27, v5
	v_pack_b32_f16 v4, v4, v24
	v_perm_b32 v7, v30, v10, 0x5040100
	ds_write2_b32 v12, v2, v11 offset0:2 offset1:3
	ds_write_b32 v12, v6 offset:16
	ds_write2_b32 v12, v0, v1 offset0:5 offset1:6
	ds_write2_b32 v12, v5, v3 offset0:7 offset1:8
	;; [unrolled: 1-line block ×3, first 2 shown]
.LBB0_7:
	s_or_b32 exec_lo, exec_lo, s4
	v_and_b32_e32 v0, 0xff, v32
	s_load_dwordx4 s[4:7], s[0:1], 0x0
	s_waitcnt lgkmcnt(0)
	s_barrier
	buffer_gl0_inv
	v_mul_lo_u16 v0, 0x75, v0
	v_add_lshl_u32 v37, v33, v32, 2
	v_mov_b32_e32 v22, 0x6e
	v_cmp_gt_u16_e64 s0, 11, v32
	v_lshrrev_b16 v0, 8, v0
	v_add_nc_u32_e32 v19, 0x400, v37
	v_sub_nc_u16 v1, v32, v0
	v_lshrrev_b16 v1, 1, v1
	v_and_b32_e32 v1, 0x7f, v1
	v_add_nc_u16 v0, v1, v0
	v_lshrrev_b16 v9, 3, v0
	v_mul_lo_u16 v0, v9, 11
	v_mul_u32_u24_sdwa v9, v9, v22 dst_sel:DWORD dst_unused:UNUSED_PAD src0_sel:WORD_0 src1_sel:DWORD
	v_sub_nc_u16 v0, v32, v0
	v_and_b32_e32 v21, 0xff, v0
	v_mad_u64_u32 v[11:12], null, v21, 36, s[2:3]
	v_add_nc_u32_e32 v9, v9, v21
	s_clause 0x2
	global_load_dwordx4 v[4:7], v[11:12], off
	global_load_dwordx4 v[0:3], v[11:12], off offset:16
	global_load_dword v40, v[11:12], off offset:32
	ds_read2_b32 v[11:12], v37 offset1:33
	ds_read2_b32 v[13:14], v37 offset0:66 offset1:99
	ds_read2_b32 v[15:16], v37 offset0:132 offset1:165
	;; [unrolled: 1-line block ×4, first 2 shown]
	v_add_lshl_u32 v39, v33, v9, 2
	s_waitcnt vmcnt(0) lgkmcnt(0)
	s_barrier
	buffer_gl0_inv
	v_lshrrev_b32_e32 v24, 16, v12
	v_lshrrev_b32_e32 v22, 16, v13
	;; [unrolled: 1-line block ×10, first 2 shown]
	v_mul_f16_sdwa v9, v24, v4 dst_sel:DWORD dst_unused:UNUSED_PAD src0_sel:DWORD src1_sel:WORD_1
	v_mul_f16_sdwa v38, v12, v4 dst_sel:DWORD dst_unused:UNUSED_PAD src0_sel:DWORD src1_sel:WORD_1
	;; [unrolled: 1-line block ×18, first 2 shown]
	v_fma_f16 v9, v12, v4, -v9
	v_fmac_f16_e32 v38, v24, v4
	v_fma_f16 v12, v13, v5, -v41
	v_fmac_f16_e32 v42, v22, v5
	;; [unrolled: 2-line block ×9, first 2 shown]
	v_add_f16_e32 v20, v11, v12
	v_add_f16_e32 v21, v14, v16
	v_sub_f16_e32 v25, v12, v14
	v_sub_f16_e32 v26, v18, v16
	;; [unrolled: 1-line block ×4, first 2 shown]
	v_add_f16_e32 v35, v23, v42
	v_sub_f16_e32 v45, v42, v46
	v_sub_f16_e32 v47, v54, v50
	v_add_f16_e32 v53, v9, v13
	v_add_f16_e32 v55, v15, v17
	;; [unrolled: 1-line block ×6, first 2 shown]
	v_sub_f16_e32 v22, v42, v54
	v_sub_f16_e32 v24, v46, v50
	v_add_f16_e32 v27, v12, v18
	v_add_f16_e32 v41, v46, v50
	v_sub_f16_e32 v43, v14, v16
	v_add_f16_e32 v49, v42, v54
	v_sub_f16_e32 v42, v46, v42
	v_sub_f16_e32 v57, v44, v56
	;; [unrolled: 1-line block ×6, first 2 shown]
	v_add_f16_e32 v14, v20, v14
	v_fma_f16 v20, -0.5, v21, v11
	v_add_f16_e32 v21, v25, v26
	v_add_f16_e32 v25, v28, v29
	;; [unrolled: 1-line block ×5, first 2 shown]
	v_fma_f16 v35, -0.5, v55, v9
	v_add_f16_e32 v45, v64, v48
	v_fma_f16 v46, -0.5, v65, v38
	v_sub_f16_e32 v51, v50, v54
	v_sub_f16_e32 v58, v48, v52
	v_fmac_f16_e32 v9, -0.5, v61
	v_fmac_f16_e32 v38, -0.5, v69
	v_sub_f16_e32 v60, v19, v17
	v_sub_f16_e32 v63, v17, v19
	;; [unrolled: 1-line block ×5, first 2 shown]
	v_fmac_f16_e32 v11, -0.5, v27
	v_fma_f16 v27, -0.5, v41, v23
	v_fmac_f16_e32 v23, -0.5, v49
	v_add_f16_e32 v15, v15, v17
	v_fmamk_f16 v17, v57, 0x3b9c, v35
	v_add_f16_e32 v45, v45, v52
	v_fmamk_f16 v52, v13, 0xbb9c, v46
	v_sub_f16_e32 v44, v48, v44
	v_add_f16_e32 v29, v42, v51
	v_fmamk_f16 v51, v58, 0xbb9c, v9
	v_fmac_f16_e32 v9, 0x3b9c, v58
	v_fmamk_f16 v53, v66, 0x3b9c, v38
	v_fmac_f16_e32 v38, 0xbb9c, v66
	v_sub_f16_e32 v12, v12, v18
	v_fmac_f16_e32 v35, 0xbb9c, v57
	v_fmac_f16_e32 v46, 0x3b9c, v13
	v_add_f16_e32 v41, v59, v60
	v_add_f16_e32 v47, v67, v68
	;; [unrolled: 1-line block ×4, first 2 shown]
	v_fmamk_f16 v50, v43, 0x3b9c, v23
	v_fmac_f16_e32 v23, 0xbb9c, v43
	v_fmac_f16_e32 v17, 0x38b4, v58
	;; [unrolled: 1-line block ×3, first 2 shown]
	v_add_f16_e32 v42, v62, v63
	v_add_f16_e32 v44, v44, v70
	v_fmamk_f16 v16, v22, 0x3b9c, v20
	v_fmac_f16_e32 v20, 0xbb9c, v22
	v_fmamk_f16 v48, v24, 0xbb9c, v11
	v_fmac_f16_e32 v11, 0x3b9c, v24
	v_fmac_f16_e32 v51, 0x38b4, v57
	v_fmac_f16_e32 v9, 0xb8b4, v57
	v_fmac_f16_e32 v53, 0xb8b4, v13
	v_fmac_f16_e32 v38, 0x38b4, v13
	v_fmamk_f16 v49, v12, 0xbb9c, v27
	v_fmac_f16_e32 v27, 0x3b9c, v12
	v_fmac_f16_e32 v35, 0xb8b4, v58
	;; [unrolled: 1-line block ×3, first 2 shown]
	v_add_f16_e32 v14, v14, v18
	v_add_f16_e32 v18, v26, v54
	v_fmac_f16_e32 v50, 0xb8b4, v12
	v_fmac_f16_e32 v23, 0x38b4, v12
	v_add_f16_e32 v12, v15, v19
	v_add_f16_e32 v15, v45, v56
	v_fmac_f16_e32 v17, 0x34f2, v41
	v_fmac_f16_e32 v52, 0x34f2, v47
	;; [unrolled: 1-line block ×14, first 2 shown]
	v_add_f16_e32 v13, v14, v12
	v_add_f16_e32 v19, v18, v15
	v_sub_f16_e32 v12, v14, v12
	v_sub_f16_e32 v14, v18, v15
	v_mul_f16_e32 v15, 0x38b4, v52
	v_mul_f16_e32 v24, 0xb8b4, v17
	v_fmac_f16_e32 v16, 0x34f2, v21
	v_fmac_f16_e32 v20, 0x34f2, v21
	;; [unrolled: 1-line block ×4, first 2 shown]
	v_mul_f16_e32 v18, 0x3b9c, v53
	v_mul_f16_e32 v21, 0x34f2, v9
	;; [unrolled: 1-line block ×4, first 2 shown]
	v_fmac_f16_e32 v49, 0x34f2, v28
	v_fmac_f16_e32 v27, 0x34f2, v28
	v_mul_f16_e32 v22, 0x3a79, v35
	v_mul_f16_e32 v28, 0x3a79, v46
	v_fmac_f16_e32 v15, 0x3a79, v17
	v_fmac_f16_e32 v24, 0x3a79, v52
	;; [unrolled: 1-line block ×4, first 2 shown]
	v_pack_b32_f16 v13, v13, v19
	v_pack_b32_f16 v12, v12, v14
	v_fmac_f16_e32 v18, 0x34f2, v51
	v_fma_f16 v14, v38, 0x3b9c, -v21
	v_fmac_f16_e32 v25, 0x34f2, v53
	v_fma_f16 v19, v9, 0xbb9c, -v26
	v_fma_f16 v17, v46, 0x38b4, -v22
	;; [unrolled: 1-line block ×3, first 2 shown]
	v_add_f16_e32 v22, v16, v15
	v_add_f16_e32 v35, v49, v24
	;; [unrolled: 1-line block ×8, first 2 shown]
	v_sub_f16_e32 v15, v16, v15
	v_sub_f16_e32 v16, v48, v18
	;; [unrolled: 1-line block ×8, first 2 shown]
	v_pack_b32_f16 v19, v22, v35
	v_pack_b32_f16 v20, v26, v41
	;; [unrolled: 1-line block ×8, first 2 shown]
	ds_write2_b32 v39, v13, v19 offset1:11
	ds_write2_b32 v39, v20, v21 offset0:22 offset1:33
	ds_write2_b32 v39, v22, v12 offset0:44 offset1:55
	;; [unrolled: 1-line block ×4, first 2 shown]
	s_waitcnt lgkmcnt(0)
	s_barrier
	buffer_gl0_inv
	ds_read2_b32 v[23:24], v37 offset1:33
	ds_read2_b32 v[21:22], v37 offset0:66 offset1:110
	ds_read2_b32 v[19:20], v37 offset0:220 offset1:253
	ds_read2_b32 v[25:26], v37 offset0:143 offset1:176
	ds_read_b32 v27, v37 offset:1144
                                        ; implicit-def: $vgpr46
                                        ; implicit-def: $vgpr47
	s_and_saveexec_b32 s1, s0
	s_cbranch_execz .LBB0_9
; %bb.8:
	ds_read2_b32 v[9:10], v37 offset0:99 offset1:209
	ds_read_b32 v46, v37 offset:1276
	s_waitcnt lgkmcnt(1)
	v_lshrrev_b32_e32 v38, 16, v9
	v_lshrrev_b32_e32 v30, 16, v10
	s_waitcnt lgkmcnt(0)
	v_lshrrev_b32_e32 v47, 16, v46
.LBB0_9:
	s_or_b32 exec_lo, exec_lo, s1
	v_lshlrev_b32_e32 v11, 3, v32
	s_waitcnt lgkmcnt(1)
	v_lshrrev_b32_e32 v45, 16, v25
	v_lshrrev_b32_e32 v48, 16, v20
	v_lshrrev_b32_e32 v49, 16, v26
	s_waitcnt lgkmcnt(0)
	v_lshrrev_b32_e32 v50, 16, v27
	v_add_nc_u32_e32 v12, 0x108, v11
	global_load_dwordx2 v[15:16], v11, s[2:3] offset:396
	v_add_nc_u32_e32 v11, 0x210, v11
	v_lshrrev_b32_e32 v44, 16, v23
	v_lshrrev_b32_e32 v43, 16, v24
	s_clause 0x1
	global_load_dwordx2 v[17:18], v12, s[2:3] offset:396
	global_load_dwordx2 v[13:14], v11, s[2:3] offset:396
	v_add_co_u32 v11, s1, 0x63, v32
	v_add_co_ci_u32_e64 v12, null, 0, 0, s1
	v_add_co_u32 v28, s1, v32, -11
	v_add_co_ci_u32_e64 v29, null, 0, -1, s1
	v_lshrrev_b32_e32 v42, 16, v21
	v_cndmask_b32_e64 v11, v28, v11, s0
	v_lshrrev_b32_e32 v28, 16, v22
	v_cndmask_b32_e64 v12, v29, v12, s0
	v_lshrrev_b32_e32 v29, 16, v19
	v_lshl_add_u32 v35, v32, 2, v34
	v_add_nc_u32_e32 v41, v31, v34
	v_lshlrev_b64 v[11:12], 3, v[11:12]
	v_add_co_u32 v11, s1, s2, v11
	v_add_co_ci_u32_e64 v12, s1, s3, v12, s1
	global_load_dwordx2 v[11:12], v[11:12], off offset:396
	s_waitcnt vmcnt(3)
	v_mul_f16_sdwa v52, v22, v15 dst_sel:DWORD dst_unused:UNUSED_PAD src0_sel:DWORD src1_sel:WORD_1
	v_mul_f16_sdwa v54, v19, v16 dst_sel:DWORD dst_unused:UNUSED_PAD src0_sel:DWORD src1_sel:WORD_1
	;; [unrolled: 1-line block ×4, first 2 shown]
	v_fmac_f16_e32 v52, v28, v15
	v_fmac_f16_e32 v54, v29, v16
	s_waitcnt vmcnt(1)
	v_mul_f16_sdwa v58, v27, v14 dst_sel:DWORD dst_unused:UNUSED_PAD src0_sel:DWORD src1_sel:WORD_1
	v_fma_f16 v22, v22, v15, -v51
	v_fma_f16 v19, v19, v16, -v53
	v_mul_f16_sdwa v28, v45, v17 dst_sel:DWORD dst_unused:UNUSED_PAD src0_sel:DWORD src1_sel:WORD_1
	v_mul_f16_sdwa v29, v25, v17 dst_sel:DWORD dst_unused:UNUSED_PAD src0_sel:DWORD src1_sel:WORD_1
	;; [unrolled: 1-line block ×7, first 2 shown]
	v_fmac_f16_e32 v58, v50, v14
	v_add_f16_e32 v50, v52, v54
	v_fma_f16 v28, v25, v17, -v28
	v_fmac_f16_e32 v29, v45, v17
	v_fma_f16 v20, v20, v18, -v51
	v_fmac_f16_e32 v53, v48, v18
	;; [unrolled: 2-line block ×3, first 2 shown]
	v_fma_f16 v45, v27, v14, -v57
	v_add_f16_e32 v25, v23, v22
	v_add_f16_e32 v27, v22, v19
	;; [unrolled: 1-line block ×3, first 2 shown]
	v_sub_f16_e32 v22, v22, v19
	v_fmac_f16_e32 v44, -0.5, v50
	v_sub_f16_e32 v48, v52, v54
	v_add_f16_e32 v25, v25, v19
	v_fma_f16 v27, -0.5, v27, v23
	v_add_f16_e32 v19, v49, v54
	s_waitcnt vmcnt(0)
	v_mul_f16_sdwa v62, v30, v11 dst_sel:DWORD dst_unused:UNUSED_PAD src0_sel:DWORD src1_sel:WORD_1
	v_mul_f16_sdwa v63, v10, v11 dst_sel:DWORD dst_unused:UNUSED_PAD src0_sel:DWORD src1_sel:WORD_1
	;; [unrolled: 1-line block ×4, first 2 shown]
	v_add_f16_e32 v49, v28, v20
	v_sub_f16_e32 v50, v29, v53
	v_add_f16_e32 v52, v43, v29
	v_add_f16_e32 v29, v29, v53
	;; [unrolled: 1-line block ×4, first 2 shown]
	v_fmamk_f16 v51, v22, 0xbaee, v44
	v_fmac_f16_e32 v44, 0x3aee, v22
	v_fma_f16 v10, v10, v11, -v62
	v_fmac_f16_e32 v63, v30, v11
	v_fma_f16 v22, v46, v12, -v64
	v_fmac_f16_e32 v65, v47, v12
	v_add_f16_e32 v23, v24, v28
	v_add_f16_e32 v57, v26, v45
	v_sub_f16_e32 v59, v56, v58
	v_add_f16_e32 v56, v56, v58
	v_sub_f16_e32 v54, v28, v20
	v_sub_f16_e32 v61, v26, v45
	v_fmamk_f16 v26, v48, 0x3aee, v27
	v_fmac_f16_e32 v27, 0xbaee, v48
	v_fmac_f16_e32 v24, -0.5, v49
	v_fmac_f16_e32 v43, -0.5, v29
	v_add_f16_e32 v29, v55, v45
	v_add_f16_e32 v45, v60, v58
	;; [unrolled: 1-line block ×6, first 2 shown]
	v_fmac_f16_e32 v21, -0.5, v57
	v_fmac_f16_e32 v42, -0.5, v56
	v_fmamk_f16 v23, v50, 0x3aee, v24
	v_fmamk_f16 v52, v54, 0xbaee, v43
	v_fmac_f16_e32 v43, 0x3aee, v54
	v_pack_b32_f16 v46, v26, v51
	v_pack_b32_f16 v49, v27, v44
	v_add_f16_e32 v54, v9, v10
	v_sub_f16_e32 v56, v63, v65
	v_add_f16_e32 v57, v38, v63
	v_sub_f16_e32 v10, v10, v22
	v_fmac_f16_e32 v9, -0.5, v55
	v_fmac_f16_e32 v38, -0.5, v58
	v_pack_b32_f16 v20, v25, v19
	v_fmac_f16_e32 v24, 0xbaee, v50
	v_pack_b32_f16 v50, v28, v48
	v_fmamk_f16 v30, v59, 0x3aee, v21
	v_fmamk_f16 v47, v61, 0xbaee, v42
	v_fmac_f16_e32 v21, 0xbaee, v59
	v_fmac_f16_e32 v42, 0x3aee, v61
	ds_write2_b32 v35, v46, v49 offset0:110 offset1:220
	ds_write2_b32 v35, v20, v50 offset1:33
	v_pack_b32_f16 v20, v23, v52
	v_add_f16_e32 v22, v54, v22
	v_add_f16_e32 v49, v57, v65
	v_fmamk_f16 v46, v56, 0x3aee, v9
	v_fmac_f16_e32 v9, 0xbaee, v56
	v_fmamk_f16 v50, v10, 0xbaee, v38
	v_fmac_f16_e32 v38, 0x3aee, v10
	v_pack_b32_f16 v59, v24, v43
	v_pack_b32_f16 v53, v29, v45
	;; [unrolled: 1-line block ×4, first 2 shown]
	ds_write_b32 v41, v20 offset:572
	ds_write_b32 v41, v59 offset:1012
	;; [unrolled: 1-line block ×5, first 2 shown]
	s_and_saveexec_b32 s1, s0
	s_cbranch_execz .LBB0_11
; %bb.10:
	v_perm_b32 v10, v49, v22, 0x5040100
	v_perm_b32 v20, v50, v46, 0x5040100
	;; [unrolled: 1-line block ×3, first 2 shown]
	ds_write2_b32 v35, v10, v20 offset0:99 offset1:209
	ds_write_b32 v35, v53 offset:1276
.LBB0_11:
	s_or_b32 exec_lo, exec_lo, s1
	s_waitcnt lgkmcnt(0)
	s_barrier
	buffer_gl0_inv
	s_and_saveexec_b32 s1, vcc_lo
	s_cbranch_execz .LBB0_13
; %bb.12:
	s_add_u32 s2, s20, 0x528
	s_addc_u32 s3, s21, 0
	s_clause 0xa
	global_load_dword v10, v31, s[20:21] offset:1320
	global_load_dword v20, v31, s[2:3] offset:120
	;; [unrolled: 1-line block ×11, first 2 shown]
	v_add_nc_u32_e32 v72, 0x200, v35
	ds_read2_b32 v[53:54], v35 offset1:30
	ds_read2_b32 v[55:56], v35 offset0:60 offset1:90
	ds_read2_b32 v[57:58], v35 offset0:120 offset1:150
	;; [unrolled: 1-line block ×3, first 2 shown]
	ds_read_b32 v73, v35 offset:1200
	ds_read2_b32 v[61:62], v72 offset0:112 offset1:142
	s_waitcnt lgkmcnt(5)
	v_lshrrev_b32_e32 v74, 16, v53
	v_lshrrev_b32_e32 v75, 16, v54
	s_waitcnt lgkmcnt(4)
	v_lshrrev_b32_e32 v76, 16, v55
	v_lshrrev_b32_e32 v77, 16, v56
	s_waitcnt lgkmcnt(3)
	v_lshrrev_b32_e32 v78, 16, v57
	v_lshrrev_b32_e32 v79, 16, v58
	s_waitcnt lgkmcnt(2)
	v_lshrrev_b32_e32 v80, 16, v59
	v_lshrrev_b32_e32 v81, 16, v60
	s_waitcnt lgkmcnt(0)
	v_lshrrev_b32_e32 v83, 16, v61
	v_lshrrev_b32_e32 v84, 16, v62
	v_lshrrev_b32_e32 v82, 16, v73
	s_waitcnt vmcnt(10)
	v_mul_f16_sdwa v85, v74, v10 dst_sel:DWORD dst_unused:UNUSED_PAD src0_sel:DWORD src1_sel:WORD_1
	v_mul_f16_sdwa v86, v53, v10 dst_sel:DWORD dst_unused:UNUSED_PAD src0_sel:DWORD src1_sel:WORD_1
	s_waitcnt vmcnt(9)
	v_mul_f16_sdwa v87, v75, v20 dst_sel:DWORD dst_unused:UNUSED_PAD src0_sel:DWORD src1_sel:WORD_1
	v_mul_f16_sdwa v88, v54, v20 dst_sel:DWORD dst_unused:UNUSED_PAD src0_sel:DWORD src1_sel:WORD_1
	;; [unrolled: 3-line block ×11, first 2 shown]
	v_fma_f16 v53, v53, v10, -v85
	v_fmac_f16_e32 v86, v74, v10
	v_fma_f16 v10, v54, v20, -v87
	v_fmac_f16_e32 v88, v75, v20
	;; [unrolled: 2-line block ×11, first 2 shown]
	v_pack_b32_f16 v53, v53, v86
	v_pack_b32_f16 v10, v10, v88
	;; [unrolled: 1-line block ×11, first 2 shown]
	ds_write2_b32 v35, v53, v10 offset1:30
	ds_write2_b32 v35, v20, v54 offset0:60 offset1:90
	ds_write2_b32 v35, v55, v56 offset0:120 offset1:150
	;; [unrolled: 1-line block ×4, first 2 shown]
	ds_write_b32 v35, v61 offset:1200
.LBB0_13:
	s_or_b32 exec_lo, exec_lo, s1
	s_waitcnt lgkmcnt(0)
	s_barrier
	buffer_gl0_inv
	s_and_saveexec_b32 s1, vcc_lo
	s_cbranch_execz .LBB0_15
; %bb.14:
	v_add_nc_u32_e32 v10, 0x200, v35
	ds_read2_b32 v[25:26], v35 offset1:30
	ds_read2_b32 v[27:28], v35 offset0:60 offset1:90
	ds_read2_b32 v[23:24], v35 offset0:120 offset1:150
	;; [unrolled: 1-line block ×4, first 2 shown]
	ds_read_b32 v46, v35 offset:1200
	s_waitcnt lgkmcnt(5)
	v_lshrrev_b32_e32 v19, 16, v25
	v_lshrrev_b32_e32 v51, 16, v26
	s_waitcnt lgkmcnt(4)
	v_lshrrev_b32_e32 v44, 16, v27
	v_lshrrev_b32_e32 v48, 16, v28
	;; [unrolled: 3-line block ×5, first 2 shown]
	s_waitcnt lgkmcnt(0)
	v_lshrrev_b32_e32 v50, 16, v46
.LBB0_15:
	s_or_b32 exec_lo, exec_lo, s1
	v_sub_f16_e32 v73, v51, v50
	v_add_f16_e32 v76, v50, v51
	v_add_f16_e32 v53, v46, v26
	v_sub_f16_e32 v56, v26, v46
	v_sub_f16_e32 v74, v44, v49
	v_mul_f16_e32 v63, 0xb853, v73
	v_mul_f16_e32 v70, 0x3abb, v76
	v_add_f16_e32 v79, v49, v44
	v_add_f16_e32 v54, v22, v27
	v_mul_f16_e32 v64, 0xbb47, v74
	v_fma_f16 v10, v53, 0x3abb, -v63
	v_fmamk_f16 v20, v56, 0xb853, v70
	v_sub_f16_e32 v55, v27, v22
	v_mul_f16_e32 v67, 0x36a6, v79
	v_sub_f16_e32 v75, v48, v42
	v_add_f16_e32 v10, v25, v10
	v_add_f16_e32 v20, v19, v20
	v_fma_f16 v59, v54, 0x36a6, -v64
	v_add_f16_e32 v78, v42, v48
	v_fmamk_f16 v60, v55, 0xbb47, v67
	v_add_f16_e32 v57, v21, v28
	v_mul_f16_e32 v65, 0xbbeb, v75
	v_sub_f16_e32 v58, v28, v21
	v_mul_f16_e32 v68, 0xb08e, v78
	v_add_f16_e32 v10, v59, v10
	v_add_f16_e32 v20, v60, v20
	v_sub_f16_e32 v77, v52, v47
	v_fma_f16 v60, v57, 0xb08e, -v65
	v_add_f16_e32 v81, v47, v52
	v_fmamk_f16 v61, v58, 0xbbeb, v68
	v_add_f16_e32 v59, v30, v23
	v_mul_f16_e32 v66, 0xba0c, v77
	v_add_f16_e32 v10, v60, v10
	v_sub_f16_e32 v60, v23, v30
	v_mul_f16_e32 v71, 0xb93d, v81
	v_sub_f16_e32 v80, v43, v45
	v_add_f16_e32 v82, v45, v43
	v_add_f16_e32 v20, v61, v20
	v_fma_f16 v83, v59, 0xb93d, -v66
	v_fmamk_f16 v84, v60, 0xba0c, v71
	v_add_f16_e32 v61, v29, v24
	v_sub_f16_e32 v62, v24, v29
	v_mul_f16_e32 v69, 0xb482, v80
	v_mul_f16_e32 v72, 0xbbad, v82
	v_add_f16_e32 v10, v83, v10
	v_add_f16_e32 v83, v84, v20
	v_fma_f16 v20, v61, 0xbbad, -v69
	v_fmamk_f16 v84, v62, 0xb482, v72
	s_barrier
	buffer_gl0_inv
	v_add_f16_e32 v20, v20, v10
	v_add_f16_e32 v10, v84, v83
	s_and_saveexec_b32 s1, vcc_lo
	s_cbranch_execz .LBB0_17
; %bb.16:
	v_mul_f16_e32 v85, 0xbbad, v76
	v_mul_f16_e32 v91, 0x3abb, v79
	;; [unrolled: 1-line block ×4, first 2 shown]
	v_add_f16_e32 v26, v26, v25
	v_fmamk_f16 v90, v56, 0x3482, v85
	v_fmamk_f16 v95, v55, 0xb853, v91
	v_mul_f16_e32 v100, 0x36a6, v81
	v_mul_f16_e32 v83, 0x3abb, v53
	;; [unrolled: 1-line block ×3, first 2 shown]
	v_add_f16_e32 v90, v19, v90
	v_sub_f16_e32 v70, v70, v84
	v_add_f16_e32 v26, v27, v26
	v_add_f16_e32 v27, v51, v19
	v_mul_f16_e32 v94, 0xb482, v73
	v_add_f16_e32 v90, v95, v90
	v_fmamk_f16 v95, v58, 0x3a0c, v96
	v_mul_f16_e32 v103, 0xb08e, v82
	v_mul_f16_e32 v86, 0x36a6, v54
	;; [unrolled: 1-line block ×3, first 2 shown]
	v_add_f16_e32 v70, v19, v70
	v_add_f16_e32 v90, v95, v90
	v_fmamk_f16 v95, v60, 0xbb47, v100
	v_sub_f16_e32 v67, v67, v87
	v_add_f16_e32 v63, v83, v63
	v_add_f16_e32 v26, v28, v26
	;; [unrolled: 1-line block ×3, first 2 shown]
	v_fmamk_f16 v98, v53, 0xbbad, v94
	v_mul_f16_e32 v99, 0x3853, v74
	v_add_f16_e32 v90, v95, v90
	v_fmamk_f16 v95, v62, 0x3beb, v103
	v_mul_f16_e32 v105, 0xb93d, v76
	v_mul_f16_e32 v88, 0xb08e, v57
	;; [unrolled: 1-line block ×3, first 2 shown]
	v_add_f16_e32 v67, v67, v70
	v_sub_f16_e32 v28, v68, v89
	v_add_f16_e32 v44, v25, v63
	v_add_f16_e32 v63, v86, v64
	v_add_f16_e32 v23, v23, v26
	v_add_f16_e32 v26, v48, v27
	v_add_f16_e32 v98, v25, v98
	v_fmamk_f16 v101, v54, 0x3abb, v99
	v_mul_f16_e32 v102, 0xba0c, v75
	v_add_f16_e32 v90, v95, v90
	v_fmamk_f16 v95, v56, 0x3a0c, v105
	v_mul_f16_e32 v107, 0xb08e, v79
	v_mul_f16_e32 v92, 0xb93d, v59
	;; [unrolled: 1-line block ×3, first 2 shown]
	v_add_f16_e32 v27, v28, v67
	v_sub_f16_e32 v28, v71, v93
	v_add_f16_e32 v44, v63, v44
	v_add_f16_e32 v23, v24, v23
	;; [unrolled: 1-line block ×5, first 2 shown]
	v_fmamk_f16 v101, v57, 0xb93d, v102
	v_mul_f16_e32 v104, 0x3b47, v77
	v_add_f16_e32 v95, v19, v95
	v_fmamk_f16 v109, v55, 0xbbeb, v107
	v_mul_f16_e32 v110, 0x3abb, v78
	v_mul_f16_e32 v97, 0xbbad, v61
	v_add_f16_e32 v27, v28, v27
	v_sub_f16_e32 v28, v72, v106
	v_add_f16_e32 v23, v29, v23
	v_add_f16_e32 v24, v43, v24
	;; [unrolled: 1-line block ×5, first 2 shown]
	v_fmamk_f16 v101, v59, 0x36a6, v104
	v_add_f16_e32 v95, v109, v95
	v_fmamk_f16 v109, v58, 0x3853, v110
	v_mul_f16_e32 v114, 0xbbad, v81
	v_add_f16_e32 v27, v28, v27
	v_add_f16_e32 v23, v30, v23
	;; [unrolled: 1-line block ×3, first 2 shown]
	v_fmac_f16_e32 v85, 0xb482, v56
	v_add_f16_e32 v26, v29, v26
	v_add_f16_e32 v28, v97, v69
	;; [unrolled: 1-line block ×3, first 2 shown]
	v_mul_f16_e32 v101, 0xbbeb, v80
	v_add_f16_e32 v95, v109, v95
	v_fmamk_f16 v109, v60, 0x3482, v114
	v_mul_f16_e32 v117, 0x36a6, v82
	v_add_f16_e32 v21, v21, v23
	v_add_f16_e32 v23, v47, v24
	;; [unrolled: 1-line block ×3, first 2 shown]
	v_fmac_f16_e32 v91, 0x3853, v55
	v_add_f16_e32 v26, v28, v26
	v_fma_f16 v28, v53, 0xbbad, -v94
	v_mul_f16_e32 v108, 0xba0c, v73
	v_fmamk_f16 v111, v61, 0xb08e, v101
	v_add_f16_e32 v95, v109, v95
	v_fmamk_f16 v109, v62, 0xbb47, v117
	v_mul_f16_e32 v119, 0xb08e, v76
	v_add_f16_e32 v21, v22, v21
	v_add_f16_e32 v22, v42, v23
	;; [unrolled: 1-line block ×4, first 2 shown]
	v_fma_f16 v28, v54, 0x3abb, -v99
	v_fmamk_f16 v112, v53, 0xb93d, v108
	v_mul_f16_e32 v113, 0x3beb, v74
	v_add_f16_e32 v98, v111, v98
	v_add_f16_e32 v95, v109, v95
	v_fmamk_f16 v109, v56, 0x3beb, v119
	v_mul_f16_e32 v111, 0xbbad, v79
	v_add_f16_e32 v24, v28, v24
	v_fma_f16 v28, v57, 0xb93d, -v102
	v_fmac_f16_e32 v105, 0xba0c, v56
	v_add_f16_e32 v112, v25, v112
	v_fmamk_f16 v115, v54, 0xb08e, v113
	v_mul_f16_e32 v116, 0xb853, v75
	v_mul_f16_e32 v120, 0xbbeb, v73
	v_add_f16_e32 v109, v19, v109
	v_fmamk_f16 v121, v55, 0xb482, v111
	v_mul_f16_e32 v122, 0x36a6, v78
	v_add_f16_e32 v24, v28, v24
	v_fma_f16 v28, v59, 0x36a6, -v104
	v_add_f16_e32 v29, v19, v105
	v_fmac_f16_e32 v107, 0x3beb, v55
	v_fma_f16 v30, v53, 0xb93d, -v108
	v_add_f16_e32 v112, v115, v112
	v_fmamk_f16 v115, v57, 0x3abb, v116
	v_mul_f16_e32 v118, 0xb482, v77
	v_fmamk_f16 v124, v53, 0xb08e, v120
	v_mul_f16_e32 v125, 0x3482, v74
	v_add_f16_e32 v109, v121, v109
	v_fmamk_f16 v121, v58, 0xbb47, v122
	v_mul_f16_e32 v126, 0x3abb, v81
	v_add_f16_e32 v24, v28, v24
	v_fma_f16 v28, v61, 0xb08e, -v101
	v_add_f16_e32 v29, v107, v29
	v_fmac_f16_e32 v110, 0xb853, v58
	v_add_f16_e32 v30, v25, v30
	v_fma_f16 v42, v54, 0xb08e, -v113
	v_fmac_f16_e32 v119, 0xbbeb, v56
	v_add_f16_e32 v112, v115, v112
	v_fmamk_f16 v115, v59, 0xbbad, v118
	v_add_f16_e32 v124, v25, v124
	v_fmamk_f16 v127, v54, 0xbbad, v125
	v_mul_f16_e32 v128, 0x3b47, v75
	v_add_f16_e32 v109, v121, v109
	v_fmamk_f16 v121, v60, 0x3853, v126
	v_mul_f16_e32 v129, 0xb93d, v82
	v_add_f16_e32 v24, v28, v24
	v_add_f16_e32 v28, v110, v29
	;; [unrolled: 1-line block ×3, first 2 shown]
	v_fma_f16 v30, v57, 0x3abb, -v116
	v_add_f16_e32 v42, v19, v119
	v_fmac_f16_e32 v111, 0x3482, v55
	v_add_f16_e32 v112, v115, v112
	v_mul_f16_e32 v115, 0x3b47, v80
	v_add_f16_e32 v124, v127, v124
	v_fmamk_f16 v127, v57, 0x36a6, v128
	v_mul_f16_e32 v130, 0xb853, v77
	v_add_f16_e32 v109, v121, v109
	v_fmamk_f16 v121, v62, 0x3a0c, v129
	v_mul_f16_e32 v76, 0x36a6, v76
	v_add_f16_e32 v29, v30, v29
	v_fma_f16 v30, v59, 0xbbad, -v118
	v_add_f16_e32 v42, v111, v42
	v_fmac_f16_e32 v122, 0x3b47, v58
	v_fmamk_f16 v123, v61, 0x36a6, v115
	v_add_f16_e32 v124, v127, v124
	v_fmamk_f16 v127, v59, 0x3abb, v130
	v_add_f16_e32 v109, v121, v109
	v_fmamk_f16 v121, v56, 0x3b47, v76
	v_mul_f16_e32 v79, 0xb93d, v79
	v_mul_f16_e32 v73, 0xbb47, v73
	v_add_f16_e32 v29, v30, v29
	v_fma_f16 v30, v61, 0x36a6, -v115
	v_add_f16_e32 v42, v122, v42
	v_fmac_f16_e32 v126, 0xb853, v60
	v_add_f16_e32 v112, v123, v112
	v_add_f16_e32 v123, v127, v124
	;; [unrolled: 1-line block ×3, first 2 shown]
	v_fmamk_f16 v127, v55, 0x3a0c, v79
	v_mul_f16_e32 v78, 0xbbad, v78
	v_fmamk_f16 v132, v53, 0x36a6, v73
	v_mul_f16_e32 v74, 0xba0c, v74
	v_fma_f16 v43, v53, 0xb08e, -v120
	v_add_f16_e32 v29, v30, v29
	v_fmac_f16_e32 v76, 0xbb47, v56
	v_add_f16_e32 v30, v126, v42
	v_fma_f16 v42, v53, 0x36a6, -v73
	v_mul_f16_e32 v124, 0xba0c, v80
	v_add_f16_e32 v121, v127, v121
	v_fmamk_f16 v127, v58, 0xb482, v78
	v_mul_f16_e32 v81, 0xb08e, v81
	v_add_f16_e32 v132, v25, v132
	v_fmamk_f16 v133, v54, 0xb93d, v74
	v_mul_f16_e32 v75, 0x3482, v75
	v_add_f16_e32 v43, v25, v43
	v_fma_f16 v44, v54, 0xbbad, -v125
	v_add_f16_e32 v19, v19, v76
	v_fmac_f16_e32 v79, 0xba0c, v55
	v_add_f16_e32 v25, v25, v42
	v_fma_f16 v42, v54, 0xb93d, -v74
	v_fmamk_f16 v131, v61, 0xb93d, v124
	v_add_f16_e32 v121, v127, v121
	v_fmamk_f16 v127, v60, 0xbbeb, v81
	v_mul_f16_e32 v82, 0x3abb, v82
	v_add_f16_e32 v132, v133, v132
	v_fmamk_f16 v133, v57, 0xbbad, v75
	v_mul_f16_e32 v77, 0x3beb, v77
	v_fmac_f16_e32 v96, 0xba0c, v58
	v_add_f16_e32 v43, v44, v43
	v_fma_f16 v44, v57, 0x36a6, -v128
	v_add_f16_e32 v19, v79, v19
	v_fmac_f16_e32 v78, 0x3482, v58
	v_add_f16_e32 v25, v42, v25
	v_fma_f16 v42, v57, 0xbbad, -v75
	v_add_f16_e32 v123, v131, v123
	v_add_f16_e32 v121, v127, v121
	v_fmamk_f16 v127, v62, 0xb853, v82
	v_add_f16_e32 v131, v133, v132
	v_fmamk_f16 v132, v59, 0xb08e, v77
	v_mul_f16_e32 v80, 0x3853, v80
	v_add_f16_e32 v22, v49, v22
	v_add_f16_e32 v23, v96, v23
	v_fmac_f16_e32 v100, 0x3b47, v60
	v_fmac_f16_e32 v114, 0xb482, v60
	v_add_f16_e32 v43, v44, v43
	v_fma_f16 v44, v59, 0x3abb, -v130
	v_add_f16_e32 v19, v78, v19
	v_fmac_f16_e32 v81, 0x3beb, v60
	v_add_f16_e32 v25, v42, v25
	v_fma_f16 v42, v59, 0xb08e, -v77
	v_add_f16_e32 v84, v127, v121
	v_add_f16_e32 v121, v132, v131
	v_fmamk_f16 v127, v61, 0x3abb, v80
	v_add_f16_e32 v21, v46, v21
	v_add_f16_e32 v22, v50, v22
	v_and_b32_e32 v36, 0xffff, v36
	v_add_f16_e32 v23, v100, v23
	v_fmac_f16_e32 v103, 0xbbeb, v62
	v_add_f16_e32 v28, v114, v28
	v_fmac_f16_e32 v117, 0x3b47, v62
	v_fmac_f16_e32 v129, 0xba0c, v62
	v_add_f16_e32 v43, v44, v43
	v_fma_f16 v44, v61, 0xb93d, -v124
	v_add_f16_e32 v19, v81, v19
	v_fmac_f16_e32 v82, 0x3853, v62
	v_add_f16_e32 v25, v42, v25
	v_fma_f16 v42, v61, 0x3abb, -v80
	v_add_f16_e32 v51, v127, v121
	v_lshl_add_u32 v34, v36, 2, v34
	v_pack_b32_f16 v26, v26, v27
	v_pack_b32_f16 v21, v21, v22
	v_add_f16_e32 v23, v103, v23
	v_add_f16_e32 v28, v117, v28
	;; [unrolled: 1-line block ×6, first 2 shown]
	ds_write2_b32 v34, v21, v26 offset1:1
	v_pack_b32_f16 v21, v123, v109
	v_pack_b32_f16 v26, v51, v84
	v_pack_b32_f16 v30, v98, v90
	v_pack_b32_f16 v36, v112, v95
	v_pack_b32_f16 v28, v29, v28
	v_pack_b32_f16 v23, v24, v23
	v_pack_b32_f16 v19, v25, v19
	v_pack_b32_f16 v22, v27, v22
	v_perm_b32 v24, v10, v20, 0x5040100
	ds_write2_b32 v34, v26, v21 offset0:2 offset1:3
	ds_write2_b32 v34, v36, v30 offset0:4 offset1:5
	;; [unrolled: 1-line block ×4, first 2 shown]
	ds_write_b32 v34, v24 offset:40
.LBB0_17:
	s_or_b32 exec_lo, exec_lo, s1
	s_waitcnt lgkmcnt(0)
	s_barrier
	buffer_gl0_inv
	ds_read2_b32 v[21:22], v37 offset1:33
	ds_read2_b32 v[23:24], v37 offset0:66 offset1:99
	ds_read2_b32 v[25:26], v37 offset0:132 offset1:165
	;; [unrolled: 1-line block ×3, first 2 shown]
	v_add_nc_u32_e32 v19, 0x400, v37
	ds_read2_b32 v[29:30], v19 offset0:8 offset1:41
	s_waitcnt lgkmcnt(0)
	s_barrier
	buffer_gl0_inv
	v_lshrrev_b32_e32 v19, 16, v22
	v_lshrrev_b32_e32 v36, 16, v23
	;; [unrolled: 1-line block ×4, first 2 shown]
	v_mul_f16_sdwa v47, v4, v22 dst_sel:DWORD dst_unused:UNUSED_PAD src0_sel:WORD_1 src1_sel:DWORD
	v_mul_f16_sdwa v48, v5, v23 dst_sel:DWORD dst_unused:UNUSED_PAD src0_sel:WORD_1 src1_sel:DWORD
	v_lshrrev_b32_e32 v44, 16, v26
	v_lshrrev_b32_e32 v45, 16, v27
	v_mul_f16_sdwa v49, v6, v24 dst_sel:DWORD dst_unused:UNUSED_PAD src0_sel:WORD_1 src1_sel:DWORD
	v_mul_f16_sdwa v50, v7, v25 dst_sel:DWORD dst_unused:UNUSED_PAD src0_sel:WORD_1 src1_sel:DWORD
	;; [unrolled: 1-line block ×3, first 2 shown]
	v_fma_f16 v19, v4, v19, -v47
	v_mul_f16_sdwa v47, v5, v36 dst_sel:DWORD dst_unused:UNUSED_PAD src0_sel:WORD_1 src1_sel:DWORD
	v_mul_f16_sdwa v54, v6, v42 dst_sel:DWORD dst_unused:UNUSED_PAD src0_sel:WORD_1 src1_sel:DWORD
	v_fma_f16 v36, v5, v36, -v48
	v_mul_f16_sdwa v48, v7, v43 dst_sel:DWORD dst_unused:UNUSED_PAD src0_sel:WORD_1 src1_sel:DWORD
	v_lshrrev_b32_e32 v51, 16, v29
	v_fmac_f16_e32 v53, v4, v22
	v_fmac_f16_e32 v47, v5, v23
	;; [unrolled: 1-line block ×3, first 2 shown]
	v_fma_f16 v4, v6, v42, -v49
	v_mul_f16_sdwa v5, v0, v44 dst_sel:DWORD dst_unused:UNUSED_PAD src0_sel:WORD_1 src1_sel:DWORD
	v_fmac_f16_e32 v48, v7, v25
	v_fma_f16 v6, v7, v43, -v50
	v_mul_f16_sdwa v7, v0, v26 dst_sel:DWORD dst_unused:UNUSED_PAD src0_sel:WORD_1 src1_sel:DWORD
	v_mul_f16_sdwa v22, v1, v45 dst_sel:DWORD dst_unused:UNUSED_PAD src0_sel:WORD_1 src1_sel:DWORD
	v_lshrrev_b32_e32 v46, 16, v28
	v_fmac_f16_e32 v5, v0, v26
	v_mul_f16_sdwa v26, v3, v51 dst_sel:DWORD dst_unused:UNUSED_PAD src0_sel:WORD_1 src1_sel:DWORD
	v_fma_f16 v0, v0, v44, -v7
	v_fmac_f16_e32 v22, v1, v27
	v_mul_f16_sdwa v7, v3, v29 dst_sel:DWORD dst_unused:UNUSED_PAD src0_sel:WORD_1 src1_sel:DWORD
	v_lshrrev_b32_e32 v52, 16, v30
	v_mul_f16_sdwa v23, v1, v27 dst_sel:DWORD dst_unused:UNUSED_PAD src0_sel:WORD_1 src1_sel:DWORD
	v_mul_f16_sdwa v24, v2, v46 dst_sel:DWORD dst_unused:UNUSED_PAD src0_sel:WORD_1 src1_sel:DWORD
	v_add_f16_e32 v25, v48, v22
	v_fma_f16 v7, v3, v51, -v7
	v_fmac_f16_e32 v26, v3, v29
	v_lshrrev_b32_e32 v34, 16, v21
	v_fma_f16 v1, v1, v45, -v23
	v_fmac_f16_e32 v24, v2, v28
	v_mul_f16_sdwa v23, v2, v28 dst_sel:DWORD dst_unused:UNUSED_PAD src0_sel:WORD_1 src1_sel:DWORD
	v_mul_f16_sdwa v27, v40, v52 dst_sel:DWORD dst_unused:UNUSED_PAD src0_sel:WORD_1 src1_sel:DWORD
	v_add_f16_e32 v28, v21, v47
	v_fma_f16 v25, -0.5, v25, v21
	v_sub_f16_e32 v42, v36, v7
	v_add_f16_e32 v44, v47, v26
	v_fma_f16 v2, v2, v46, -v23
	v_fmac_f16_e32 v27, v40, v30
	v_add_f16_e32 v3, v28, v48
	v_fmamk_f16 v23, v42, 0xbb9c, v25
	v_sub_f16_e32 v28, v6, v1
	v_mul_f16_sdwa v30, v40, v30 dst_sel:DWORD dst_unused:UNUSED_PAD src0_sel:WORD_1 src1_sel:DWORD
	v_fmac_f16_e32 v21, -0.5, v44
	v_fmac_f16_e32 v25, 0x3b9c, v42
	v_add_f16_e32 v45, v34, v36
	v_sub_f16_e32 v29, v47, v48
	v_sub_f16_e32 v43, v26, v22
	v_fmac_f16_e32 v23, 0xb8b4, v28
	v_fma_f16 v30, v40, v52, -v30
	v_fmamk_f16 v40, v28, 0x3b9c, v21
	v_fmac_f16_e32 v25, 0x38b4, v28
	v_fmac_f16_e32 v21, 0xbb9c, v28
	v_add_f16_e32 v28, v45, v6
	v_add_f16_e32 v3, v3, v22
	v_add_f16_e32 v29, v29, v43
	v_sub_f16_e32 v43, v48, v47
	v_sub_f16_e32 v44, v22, v26
	v_add_f16_e32 v46, v6, v1
	v_fmac_f16_e32 v40, 0xb8b4, v42
	v_fmac_f16_e32 v21, 0x38b4, v42
	v_add_f16_e32 v28, v28, v1
	v_add_f16_e32 v42, v36, v7
	;; [unrolled: 1-line block ×4, first 2 shown]
	v_fma_f16 v44, -0.5, v46, v34
	v_sub_f16_e32 v26, v47, v26
	v_sub_f16_e32 v22, v48, v22
	;; [unrolled: 1-line block ×4, first 2 shown]
	v_fmac_f16_e32 v34, -0.5, v42
	v_add_f16_e32 v28, v28, v7
	v_sub_f16_e32 v6, v6, v36
	v_sub_f16_e32 v1, v1, v7
	v_add_f16_e32 v7, v53, v54
	v_fmac_f16_e32 v23, 0x34f2, v29
	v_fmac_f16_e32 v25, 0x34f2, v29
	;; [unrolled: 1-line block ×3, first 2 shown]
	v_fmamk_f16 v29, v26, 0x3b9c, v44
	v_fmac_f16_e32 v21, 0x34f2, v43
	v_fmac_f16_e32 v44, 0xbb9c, v26
	v_fmamk_f16 v43, v22, 0xbb9c, v34
	v_add_f16_e32 v1, v6, v1
	v_fmac_f16_e32 v34, 0x3b9c, v22
	v_add_f16_e32 v6, v7, v5
	v_add_f16_e32 v7, v5, v24
	v_fmac_f16_e32 v29, 0x38b4, v22
	v_fmac_f16_e32 v44, 0xb8b4, v22
	;; [unrolled: 1-line block ×4, first 2 shown]
	v_add_f16_e32 v6, v6, v24
	v_add_f16_e32 v22, v54, v27
	v_fma_f16 v7, -0.5, v7, v53
	v_sub_f16_e32 v26, v4, v30
	v_add_f16_e32 v42, v45, v46
	v_fmac_f16_e32 v43, 0x34f2, v1
	v_fmac_f16_e32 v34, 0x34f2, v1
	v_add_f16_e32 v1, v6, v27
	v_sub_f16_e32 v6, v0, v2
	v_fmac_f16_e32 v53, -0.5, v22
	v_fmamk_f16 v22, v26, 0xbb9c, v7
	v_fmac_f16_e32 v7, 0x3b9c, v26
	v_fmac_f16_e32 v29, 0x34f2, v42
	;; [unrolled: 1-line block ×3, first 2 shown]
	v_sub_f16_e32 v36, v54, v5
	v_sub_f16_e32 v42, v27, v24
	v_fmamk_f16 v45, v6, 0x3b9c, v53
	v_fmac_f16_e32 v53, 0xbb9c, v6
	v_sub_f16_e32 v46, v5, v54
	v_sub_f16_e32 v47, v24, v27
	v_fmac_f16_e32 v22, 0xb8b4, v6
	v_fmac_f16_e32 v7, 0x38b4, v6
	v_add_f16_e32 v6, v0, v2
	v_add_f16_e32 v36, v36, v42
	v_fmac_f16_e32 v45, 0xb8b4, v26
	v_fmac_f16_e32 v53, 0x38b4, v26
	v_add_f16_e32 v26, v4, v30
	v_add_f16_e32 v42, v46, v47
	v_fma_f16 v6, -0.5, v6, v19
	v_sub_f16_e32 v27, v54, v27
	v_fmac_f16_e32 v22, 0x34f2, v36
	v_fmac_f16_e32 v7, 0x34f2, v36
	v_add_f16_e32 v36, v19, v4
	v_sub_f16_e32 v5, v5, v24
	v_fmac_f16_e32 v19, -0.5, v26
	v_fmac_f16_e32 v45, 0x34f2, v42
	v_fmac_f16_e32 v53, 0x34f2, v42
	v_fmamk_f16 v24, v27, 0x3b9c, v6
	v_sub_f16_e32 v26, v4, v0
	v_sub_f16_e32 v42, v30, v2
	v_fmamk_f16 v46, v5, 0xbb9c, v19
	v_sub_f16_e32 v4, v0, v4
	v_sub_f16_e32 v47, v2, v30
	v_fmac_f16_e32 v19, 0x3b9c, v5
	v_fmac_f16_e32 v6, 0xbb9c, v27
	;; [unrolled: 1-line block ×3, first 2 shown]
	v_add_f16_e32 v26, v26, v42
	v_fmac_f16_e32 v46, 0x38b4, v27
	v_add_f16_e32 v4, v4, v47
	v_fmac_f16_e32 v19, 0xb8b4, v27
	v_fmac_f16_e32 v6, 0xb8b4, v5
	v_add_f16_e32 v0, v36, v0
	v_fmac_f16_e32 v24, 0x34f2, v26
	v_fmac_f16_e32 v46, 0x34f2, v4
	;; [unrolled: 1-line block ×4, first 2 shown]
	v_add_f16_e32 v0, v0, v2
	v_mul_f16_e32 v2, 0xb8b4, v24
	v_mul_f16_e32 v24, 0x3a79, v24
	;; [unrolled: 1-line block ×8, first 2 shown]
	v_add_f16_e32 v0, v0, v30
	v_fmac_f16_e32 v2, 0x3a79, v22
	v_fmac_f16_e32 v24, 0x38b4, v22
	;; [unrolled: 1-line block ×8, first 2 shown]
	v_add_f16_e32 v27, v3, v1
	v_add_f16_e32 v30, v23, v2
	;; [unrolled: 1-line block ×10, first 2 shown]
	v_sub_f16_e32 v1, v3, v1
	v_sub_f16_e32 v0, v28, v0
	;; [unrolled: 1-line block ×10, first 2 shown]
	v_pack_b32_f16 v6, v27, v7
	v_pack_b32_f16 v7, v30, v22
	;; [unrolled: 1-line block ×10, first 2 shown]
	ds_write2_b32 v39, v6, v7 offset1:11
	ds_write2_b32 v39, v22, v25 offset0:22 offset1:33
	ds_write2_b32 v39, v26, v0 offset0:44 offset1:55
	;; [unrolled: 1-line block ×4, first 2 shown]
	s_waitcnt lgkmcnt(0)
	s_barrier
	buffer_gl0_inv
	ds_read2_b32 v[2:3], v37 offset1:33
	ds_read2_b32 v[0:1], v37 offset0:66 offset1:110
	ds_read2_b32 v[4:5], v37 offset0:220 offset1:253
	ds_read2_b32 v[6:7], v37 offset0:143 offset1:176
	ds_read_b32 v24, v37 offset:1144
	v_add_nc_u32_e32 v23, 0x84, v41
	v_add_nc_u32_e32 v22, 0x108, v41
	s_and_saveexec_b32 s1, s0
	s_cbranch_execz .LBB0_19
; %bb.18:
	ds_read2_b32 v[19:20], v37 offset0:99 offset1:209
	ds_read_b32 v9, v37 offset:1276
	s_waitcnt lgkmcnt(1)
	v_lshrrev_b32_e32 v21, 16, v19
	v_lshrrev_b32_e32 v10, 16, v20
	s_waitcnt lgkmcnt(0)
	v_lshrrev_b32_e32 v38, 16, v9
.LBB0_19:
	s_or_b32 exec_lo, exec_lo, s1
	s_waitcnt lgkmcnt(3)
	v_lshrrev_b32_e32 v26, 16, v1
	s_waitcnt lgkmcnt(2)
	v_lshrrev_b32_e32 v27, 16, v4
	;; [unrolled: 2-line block ×3, first 2 shown]
	v_mul_f16_sdwa v42, v16, v4 dst_sel:DWORD dst_unused:UNUSED_PAD src0_sel:WORD_1 src1_sel:DWORD
	v_lshrrev_b32_e32 v36, 16, v7
	v_mul_f16_sdwa v37, v15, v26 dst_sel:DWORD dst_unused:UNUSED_PAD src0_sel:WORD_1 src1_sel:DWORD
	v_mul_f16_sdwa v41, v16, v27 dst_sel:DWORD dst_unused:UNUSED_PAD src0_sel:WORD_1 src1_sel:DWORD
	;; [unrolled: 1-line block ×3, first 2 shown]
	v_lshrrev_b32_e32 v30, 16, v5
	s_waitcnt lgkmcnt(0)
	v_lshrrev_b32_e32 v39, 16, v24
	v_fmac_f16_e32 v37, v15, v1
	v_mul_f16_sdwa v1, v17, v29 dst_sel:DWORD dst_unused:UNUSED_PAD src0_sel:WORD_1 src1_sel:DWORD
	v_fmac_f16_e32 v41, v16, v4
	v_fma_f16 v4, v16, v27, -v42
	v_mul_f16_sdwa v16, v17, v6 dst_sel:DWORD dst_unused:UNUSED_PAD src0_sel:WORD_1 src1_sel:DWORD
	v_mul_f16_sdwa v27, v13, v36 dst_sel:DWORD dst_unused:UNUSED_PAD src0_sel:WORD_1 src1_sel:DWORD
	v_fmac_f16_e32 v1, v17, v6
	v_fma_f16 v15, v15, v26, -v40
	v_mul_f16_sdwa v6, v18, v30 dst_sel:DWORD dst_unused:UNUSED_PAD src0_sel:WORD_1 src1_sel:DWORD
	v_fma_f16 v16, v17, v29, -v16
	v_mul_f16_sdwa v17, v13, v7 dst_sel:DWORD dst_unused:UNUSED_PAD src0_sel:WORD_1 src1_sel:DWORD
	v_mul_f16_sdwa v26, v18, v5 dst_sel:DWORD dst_unused:UNUSED_PAD src0_sel:WORD_1 src1_sel:DWORD
	v_fmac_f16_e32 v27, v13, v7
	v_add_f16_e32 v7, v37, v41
	v_lshrrev_b32_e32 v25, 16, v2
	v_fma_f16 v13, v13, v36, -v17
	v_mul_f16_sdwa v17, v14, v39 dst_sel:DWORD dst_unused:UNUSED_PAD src0_sel:WORD_1 src1_sel:DWORD
	v_fmac_f16_e32 v6, v18, v5
	v_fma_f16 v5, v18, v30, -v26
	v_mul_f16_sdwa v18, v14, v24 dst_sel:DWORD dst_unused:UNUSED_PAD src0_sel:WORD_1 src1_sel:DWORD
	v_add_f16_e32 v26, v2, v37
	v_fma_f16 v2, -0.5, v7, v2
	v_sub_f16_e32 v7, v15, v4
	v_fmac_f16_e32 v17, v14, v24
	v_add_f16_e32 v24, v15, v4
	v_fma_f16 v14, v14, v39, -v18
	v_add_f16_e32 v18, v26, v41
	v_fmamk_f16 v26, v7, 0xbaee, v2
	v_add_f16_e32 v15, v25, v15
	v_fmac_f16_e32 v2, 0x3aee, v7
	v_add_f16_e32 v7, v1, v6
	v_fmac_f16_e32 v25, -0.5, v24
	v_sub_f16_e32 v24, v37, v41
	v_lshrrev_b32_e32 v28, 16, v3
	v_add_f16_e32 v4, v15, v4
	v_add_f16_e32 v15, v3, v1
	v_fmac_f16_e32 v3, -0.5, v7
	v_sub_f16_e32 v7, v16, v5
	v_fmamk_f16 v29, v24, 0x3aee, v25
	v_fmac_f16_e32 v25, 0xbaee, v24
	v_add_f16_e32 v24, v16, v5
	v_lshrrev_b32_e32 v34, 16, v0
	v_fmamk_f16 v30, v7, 0xbaee, v3
	v_fmac_f16_e32 v3, 0x3aee, v7
	v_add_f16_e32 v7, v27, v17
	v_add_f16_e32 v15, v15, v6
	;; [unrolled: 1-line block ×3, first 2 shown]
	v_fmac_f16_e32 v28, -0.5, v24
	v_sub_f16_e32 v1, v1, v6
	v_add_f16_e32 v6, v0, v27
	v_add_f16_e32 v24, v13, v14
	v_fmac_f16_e32 v0, -0.5, v7
	v_sub_f16_e32 v7, v13, v14
	v_add_f16_e32 v13, v34, v13
	v_add_f16_e32 v5, v16, v5
	v_fmamk_f16 v16, v1, 0x3aee, v28
	v_fmac_f16_e32 v28, 0xbaee, v1
	v_add_f16_e32 v1, v6, v17
	v_fmac_f16_e32 v34, -0.5, v24
	v_sub_f16_e32 v17, v27, v17
	v_fmamk_f16 v6, v7, 0xbaee, v0
	v_fmac_f16_e32 v0, 0x3aee, v7
	v_pack_b32_f16 v7, v26, v29
	v_pack_b32_f16 v2, v2, v25
	v_add_f16_e32 v13, v13, v14
	v_fmamk_f16 v14, v17, 0x3aee, v34
	v_fmac_f16_e32 v34, 0xbaee, v17
	v_pack_b32_f16 v17, v18, v4
	ds_write2_b32 v35, v7, v2 offset0:110 offset1:220
	v_pack_b32_f16 v2, v15, v5
	v_lshl_add_u32 v4, v33, 2, v31
	v_pack_b32_f16 v5, v30, v16
	v_pack_b32_f16 v3, v3, v28
	;; [unrolled: 1-line block ×5, first 2 shown]
	ds_write2_b32 v35, v17, v2 offset1:33
	ds_write2_b32 v23, v5, v3 offset0:110 offset1:220
	ds_write_b32 v35, v1 offset:264
	ds_write2_b32 v22, v6, v0 offset0:110 offset1:220
	s_and_saveexec_b32 s1, s0
	s_cbranch_execz .LBB0_21
; %bb.20:
	v_mul_f16_sdwa v0, v11, v20 dst_sel:DWORD dst_unused:UNUSED_PAD src0_sel:WORD_1 src1_sel:DWORD
	v_mul_f16_sdwa v1, v12, v9 dst_sel:DWORD dst_unused:UNUSED_PAD src0_sel:WORD_1 src1_sel:DWORD
	;; [unrolled: 1-line block ×4, first 2 shown]
	v_fma_f16 v0, v11, v10, -v0
	v_fma_f16 v1, v12, v38, -v1
	v_fmac_f16_e32 v2, v11, v20
	v_fmac_f16_e32 v3, v12, v9
	v_add_f16_e32 v9, v21, v0
	v_add_f16_e32 v5, v0, v1
	v_sub_f16_e32 v0, v0, v1
	v_add_f16_e32 v7, v2, v3
	v_sub_f16_e32 v6, v2, v3
	v_add_f16_e32 v2, v19, v2
	v_fma_f16 v5, -0.5, v5, v21
	v_add_f16_e32 v1, v9, v1
	v_fma_f16 v7, -0.5, v7, v19
	v_add_f16_e32 v2, v2, v3
	v_fmamk_f16 v3, v6, 0xbaee, v5
	v_fmac_f16_e32 v5, 0x3aee, v6
	v_fmamk_f16 v6, v0, 0x3aee, v7
	v_fmac_f16_e32 v7, 0xbaee, v0
	v_pack_b32_f16 v0, v2, v1
	v_pack_b32_f16 v2, v6, v3
	;; [unrolled: 1-line block ×3, first 2 shown]
	ds_write2_b32 v4, v0, v1 offset0:99 offset1:209
	ds_write_b32 v4, v2 offset:1276
.LBB0_21:
	s_or_b32 exec_lo, exec_lo, s1
	s_waitcnt lgkmcnt(0)
	s_barrier
	buffer_gl0_inv
	s_and_b32 exec_lo, exec_lo, vcc_lo
	s_cbranch_execz .LBB0_23
; %bb.22:
	s_clause 0x5
	global_load_dword v2, v31, s[20:21]
	global_load_dword v3, v31, s[20:21] offset:120
	global_load_dword v9, v31, s[20:21] offset:240
	;; [unrolled: 1-line block ×5, first 2 shown]
	v_mad_u64_u32 v[11:12], null, s6, v8, 0
	v_mad_u64_u32 v[13:14], null, s4, v32, 0
	ds_read_b32 v24, v35
	ds_read2_b32 v[15:16], v4 offset0:30 offset1:60
	ds_read2_b32 v[17:18], v4 offset0:90 offset1:120
	ds_read2_b32 v[0:1], v4 offset0:150 offset1:180
	v_mov_b32_e32 v5, v12
	s_mov_b32 s22, 0x8d3018d3
	v_mov_b32_e32 v7, v14
	s_mov_b32 s23, 0x3f68d301
	s_mul_i32 s0, s5, 0x78
	v_mad_u64_u32 v[19:20], null, s7, v8, v[5:6]
	v_mad_u64_u32 v[20:21], null, s5, v32, v[7:8]
	s_mul_hi_u32 s24, s4, 0x78
	s_mul_i32 s19, s4, 0x78
	s_add_i32 s24, s24, s0
	s_clause 0x1
	global_load_dword v5, v31, s[20:21] offset:720
	global_load_dword v6, v31, s[20:21] offset:840
	v_mov_b32_e32 v12, v19
	s_clause 0x1
	global_load_dword v8, v31, s[20:21] offset:960
	global_load_dword v7, v31, s[20:21] offset:1080
	v_mov_b32_e32 v14, v20
	s_waitcnt lgkmcnt(3)
	v_lshrrev_b32_e32 v21, 16, v24
	s_waitcnt lgkmcnt(2)
	v_lshrrev_b32_e32 v25, 16, v15
	v_lshlrev_b64 v[19:20], 2, v[11:12]
	v_lshrrev_b32_e32 v26, 16, v16
	v_lshlrev_b64 v[12:13], 2, v[13:14]
	s_waitcnt lgkmcnt(1)
	v_lshrrev_b32_e32 v27, 16, v17
	v_lshrrev_b32_e32 v28, 16, v18
	s_waitcnt lgkmcnt(0)
	v_lshrrev_b32_e32 v29, 16, v0
	v_add_co_u32 v30, vcc_lo, s12, v19
	v_add_co_ci_u32_e32 v38, vcc_lo, s13, v20, vcc_lo
	v_lshrrev_b32_e32 v11, 16, v1
	v_add_co_u32 v12, vcc_lo, v30, v12
	v_add_co_ci_u32_e32 v13, vcc_lo, v38, v13, vcc_lo
	v_add_co_u32 v38, vcc_lo, v12, s19
	s_waitcnt vmcnt(9)
	v_mul_f16_sdwa v14, v21, v2 dst_sel:DWORD dst_unused:UNUSED_PAD src0_sel:DWORD src1_sel:WORD_1
	v_mul_f16_sdwa v19, v24, v2 dst_sel:DWORD dst_unused:UNUSED_PAD src0_sel:DWORD src1_sel:WORD_1
	s_waitcnt vmcnt(8)
	v_mul_f16_sdwa v20, v25, v3 dst_sel:DWORD dst_unused:UNUSED_PAD src0_sel:DWORD src1_sel:WORD_1
	v_mul_f16_sdwa v32, v15, v3 dst_sel:DWORD dst_unused:UNUSED_PAD src0_sel:DWORD src1_sel:WORD_1
	s_waitcnt vmcnt(7)
	v_mul_f16_sdwa v33, v26, v9 dst_sel:DWORD dst_unused:UNUSED_PAD src0_sel:DWORD src1_sel:WORD_1
	v_fmac_f16_e32 v14, v24, v2
	v_mul_f16_sdwa v34, v16, v9 dst_sel:DWORD dst_unused:UNUSED_PAD src0_sel:DWORD src1_sel:WORD_1
	s_waitcnt vmcnt(6)
	v_mul_f16_sdwa v35, v27, v10 dst_sel:DWORD dst_unused:UNUSED_PAD src0_sel:DWORD src1_sel:WORD_1
	v_mul_f16_sdwa v36, v17, v10 dst_sel:DWORD dst_unused:UNUSED_PAD src0_sel:DWORD src1_sel:WORD_1
	v_fma_f16 v2, v2, v21, -v19
	v_fmac_f16_e32 v20, v15, v3
	v_fma_f16 v15, v3, v25, -v32
	v_cvt_f32_f16_e32 v3, v14
	s_waitcnt vmcnt(5)
	v_mul_f16_sdwa v39, v18, v22 dst_sel:DWORD dst_unused:UNUSED_PAD src0_sel:DWORD src1_sel:WORD_1
	v_fmac_f16_e32 v33, v16, v9
	v_fma_f16 v9, v9, v26, -v34
	v_fmac_f16_e32 v35, v17, v10
	v_fma_f16 v16, v10, v27, -v36
	v_cvt_f32_f16_e32 v10, v2
	v_cvt_f64_f32_e32 v[2:3], v3
	v_mul_f16_sdwa v37, v28, v22 dst_sel:DWORD dst_unused:UNUSED_PAD src0_sel:DWORD src1_sel:WORD_1
	v_fma_f16 v14, v22, v28, -v39
	v_cvt_f32_f16_e32 v17, v20
	v_cvt_f32_f16_e32 v20, v9
	v_cvt_f64_f32_e32 v[9:10], v10
	v_fmac_f16_e32 v37, v18, v22
	v_cvt_f32_f16_e32 v18, v15
	v_cvt_f32_f16_e32 v28, v14
	v_cvt_f64_f32_e32 v[14:15], v17
	v_cvt_f32_f16_e32 v19, v33
	v_cvt_f32_f16_e32 v24, v16
	v_cvt_f64_f32_e32 v[16:17], v18
	v_cvt_f32_f16_e32 v26, v37
	s_waitcnt vmcnt(4)
	v_mul_f16_sdwa v40, v29, v23 dst_sel:DWORD dst_unused:UNUSED_PAD src0_sel:DWORD src1_sel:WORD_1
	v_cvt_f64_f32_e32 v[18:19], v19
	v_mul_f16_sdwa v41, v0, v23 dst_sel:DWORD dst_unused:UNUSED_PAD src0_sel:DWORD src1_sel:WORD_1
	v_cvt_f32_f16_e32 v22, v35
	v_cvt_f64_f32_e32 v[20:21], v20
	v_fmac_f16_e32 v40, v0, v23
	v_cvt_f64_f32_e32 v[24:25], v24
	v_fma_f16 v0, v23, v29, -v41
	v_mul_f64 v[36:37], v[2:3], s[22:23]
	v_cvt_f64_f32_e32 v[22:23], v22
	v_cvt_f64_f32_e32 v[26:27], v26
	v_add_co_ci_u32_e32 v39, vcc_lo, s24, v13, vcc_lo
	v_mul_f64 v[9:10], v[9:10], s[22:23]
	v_cvt_f32_f16_e32 v0, v0
	v_cvt_f32_f16_e32 v32, v40
	v_cvt_f64_f32_e32 v[28:29], v28
	v_mul_f64 v[14:15], v[14:15], s[22:23]
	v_add_co_u32 v40, vcc_lo, v38, s19
	v_mul_f64 v[16:17], v[16:17], s[22:23]
	v_cvt_f64_f32_e32 v[34:35], v0
	v_add_co_ci_u32_e32 v41, vcc_lo, s24, v39, vcc_lo
	v_mul_f64 v[18:19], v[18:19], s[22:23]
	v_cvt_f64_f32_e32 v[32:33], v32
	v_mul_f64 v[20:21], v[20:21], s[22:23]
	v_mul_f64 v[24:25], v[24:25], s[22:23]
	v_and_or_b32 v0, 0x1ff, v37, v36
	v_mul_f64 v[22:23], v[22:23], s[22:23]
	v_mul_f64 v[26:27], v[26:27], s[22:23]
	v_lshrrev_b32_e32 v30, 8, v37
	v_and_or_b32 v9, 0x1ff, v10, v9
	v_cmp_ne_u32_e32 vcc_lo, 0, v0
	v_lshrrev_b32_e32 v36, 8, v10
	v_mul_f64 v[28:29], v[28:29], s[22:23]
	v_and_or_b32 v14, 0x1ff, v15, v14
	v_lshrrev_b32_e32 v42, 8, v15
	v_cndmask_b32_e64 v0, 0, 1, vcc_lo
	v_cmp_ne_u32_e32 vcc_lo, 0, v9
	v_and_or_b32 v16, 0x1ff, v17, v16
	v_mul_f64 v[2:3], v[34:35], s[22:23]
	v_bfe_u32 v34, v37, 20, 11
	v_and_or_b32 v18, 0x1ff, v19, v18
	v_cndmask_b32_e64 v9, 0, 1, vcc_lo
	v_cmp_ne_u32_e32 vcc_lo, 0, v14
	v_and_or_b32 v20, 0x1ff, v21, v20
	v_mul_f64 v[32:33], v[32:33], s[22:23]
	v_and_or_b32 v24, 0x1ff, v25, v24
	v_lshrrev_b32_e32 v35, 16, v37
	v_cndmask_b32_e64 v14, 0, 1, vcc_lo
	v_cmp_ne_u32_e32 vcc_lo, 0, v16
	v_and_or_b32 v22, 0x1ff, v23, v22
	v_and_or_b32 v26, 0x1ff, v27, v26
	v_bfe_u32 v37, v10, 20, 11
	v_and_or_b32 v0, 0xffe, v30, v0
	v_cndmask_b32_e64 v16, 0, 1, vcc_lo
	v_cmp_ne_u32_e32 vcc_lo, 0, v18
	v_and_or_b32 v28, 0x1ff, v29, v28
	v_bfe_u32 v43, v15, 20, 11
	v_bfe_u32 v45, v17, 20, 11
	v_sub_nc_u32_e32 v60, 0x3f1, v34
	v_cndmask_b32_e64 v18, 0, 1, vcc_lo
	v_cmp_ne_u32_e32 vcc_lo, 0, v20
	v_add_nc_u32_e32 v34, 0xfffffc10, v34
	v_sub_nc_u32_e32 v61, 0x3f1, v37
	v_and_or_b32 v9, 0xffe, v36, v9
	v_lshrrev_b32_e32 v44, 8, v17
	v_cndmask_b32_e64 v20, 0, 1, vcc_lo
	v_cmp_ne_u32_e32 vcc_lo, 0, v22
	v_and_or_b32 v32, 0x1ff, v33, v32
	v_bfe_u32 v47, v19, 20, 11
	v_bfe_u32 v49, v21, 20, 11
	v_add_nc_u32_e32 v37, 0xfffffc10, v37
	v_cndmask_b32_e64 v22, 0, 1, vcc_lo
	v_cmp_ne_u32_e32 vcc_lo, 0, v24
	v_sub_nc_u32_e32 v62, 0x3f1, v43
	v_sub_nc_u32_e32 v63, 0x3f1, v45
	v_med3_i32 v30, v60, 0, 13
	v_med3_i32 v36, v61, 0, 13
	v_cndmask_b32_e64 v24, 0, 1, vcc_lo
	v_cmp_ne_u32_e32 vcc_lo, 0, v26
	v_and_or_b32 v14, 0xffe, v42, v14
	v_or_b32_e32 v60, 0x1000, v0
	v_lshl_or_b32 v61, v34, 12, v0
	v_lshrrev_b32_e32 v46, 8, v19
	v_cndmask_b32_e64 v26, 0, 1, vcc_lo
	v_cmp_ne_u32_e32 vcc_lo, 0, v28
	v_lshrrev_b32_e32 v48, 8, v21
	v_bfe_u32 v51, v23, 20, 11
	v_bfe_u32 v53, v25, 20, 11
	v_add_nc_u32_e32 v43, 0xfffffc10, v43
	v_cndmask_b32_e64 v28, 0, 1, vcc_lo
	v_cmp_ne_u32_e32 vcc_lo, 0, v32
	v_sub_nc_u32_e32 v64, 0x3f1, v47
	v_sub_nc_u32_e32 v65, 0x3f1, v49
	v_med3_i32 v42, v62, 0, 13
	v_and_or_b32 v16, 0xffe, v44, v16
	v_cndmask_b32_e64 v32, 0, 1, vcc_lo
	v_cmp_ne_u32_e32 vcc_lo, 0, v0
	v_med3_i32 v44, v63, 0, 13
	v_or_b32_e32 v62, 0x1000, v9
	v_lshl_or_b32 v63, v37, 12, v9
	v_lshrrev_b32_e32 v50, 8, v23
	v_cndmask_b32_e64 v0, 0, 1, vcc_lo
	v_cmp_ne_u32_e32 vcc_lo, 0, v9
	v_lshrrev_b32_e32 v52, 8, v25
	v_bfe_u32 v55, v27, 20, 11
	v_bfe_u32 v57, v29, 20, 11
	v_add_nc_u32_e32 v45, 0xfffffc10, v45
	v_cndmask_b32_e64 v9, 0, 1, vcc_lo
	v_cmp_ne_u32_e32 vcc_lo, 0, v14
	v_sub_nc_u32_e32 v66, 0x3f1, v51
	v_sub_nc_u32_e32 v67, 0x3f1, v53
	v_and_or_b32 v18, 0xffe, v46, v18
	v_med3_i32 v46, v64, 0, 13
	v_and_or_b32 v20, 0xffe, v48, v20
	v_med3_i32 v48, v65, 0, 13
	v_or_b32_e32 v64, 0x1000, v14
	v_lshl_or_b32 v65, v43, 12, v14
	v_cndmask_b32_e64 v14, 0, 1, vcc_lo
	v_cmp_ne_u32_e32 vcc_lo, 0, v16
	v_lshrrev_b32_e32 v54, 8, v27
	v_lshrrev_b32_e32 v56, 8, v29
	v_bfe_u32 v59, v33, 20, 11
	v_add_nc_u32_e32 v47, 0xfffffc10, v47
	v_sub_nc_u32_e32 v68, 0x3f1, v55
	v_sub_nc_u32_e32 v69, 0x3f1, v57
	v_and_or_b32 v22, 0xffe, v50, v22
	v_med3_i32 v50, v66, 0, 13
	v_and_or_b32 v24, 0xffe, v52, v24
	v_med3_i32 v52, v67, 0, 13
	v_or_b32_e32 v66, 0x1000, v16
	v_lshl_or_b32 v67, v45, 12, v16
	v_cndmask_b32_e64 v16, 0, 1, vcc_lo
	v_cmp_ne_u32_e32 vcc_lo, 0, v18
	v_lshrrev_b32_e32 v58, 8, v33
	v_add_nc_u32_e32 v49, 0xfffffc10, v49
	v_sub_nc_u32_e32 v70, 0x3f1, v59
	v_and_or_b32 v26, 0xffe, v54, v26
	v_med3_i32 v54, v68, 0, 13
	v_and_or_b32 v28, 0xffe, v56, v28
	v_med3_i32 v56, v69, 0, 13
	v_or_b32_e32 v68, 0x1000, v18
	v_lshl_or_b32 v69, v47, 12, v18
	v_cndmask_b32_e64 v18, 0, 1, vcc_lo
	v_cmp_ne_u32_e32 vcc_lo, 0, v20
	v_add_nc_u32_e32 v51, 0xfffffc10, v51
	v_and_or_b32 v32, 0xffe, v58, v32
	v_med3_i32 v58, v70, 0, 13
	v_or_b32_e32 v70, 0x1000, v20
	v_lshl_or_b32 v71, v49, 12, v20
	v_cndmask_b32_e64 v20, 0, 1, vcc_lo
	v_cmp_ne_u32_e32 vcc_lo, 0, v22
	v_add_nc_u32_e32 v53, 0xfffffc10, v53
	v_or_b32_e32 v72, 0x1000, v22
	v_lshl_or_b32 v73, v51, 12, v22
	v_lshrrev_b32_e32 v81, v30, v60
	v_cndmask_b32_e64 v22, 0, 1, vcc_lo
	v_cmp_ne_u32_e32 vcc_lo, 0, v24
	v_add_nc_u32_e32 v55, 0xfffffc10, v55
	v_or_b32_e32 v74, 0x1000, v24
	v_lshl_or_b32 v75, v53, 12, v24
	v_lshrrev_b32_e32 v82, v36, v62
	v_cndmask_b32_e64 v24, 0, 1, vcc_lo
	v_cmp_ne_u32_e32 vcc_lo, 0, v26
	v_lshlrev_b32_e32 v30, v30, v81
	v_or_b32_e32 v76, 0x1000, v26
	v_lshl_or_b32 v77, v55, 12, v26
	v_lshrrev_b32_e32 v83, v42, v64
	v_cndmask_b32_e64 v26, 0, 1, vcc_lo
	v_lshlrev_b32_e32 v36, v36, v82
	v_cmp_ne_u32_e32 vcc_lo, v30, v60
	v_lshrrev_b32_e32 v84, v44, v66
	v_lshlrev_b32_e32 v42, v42, v83
	v_lshrrev_b32_e32 v85, v46, v68
	v_lshrrev_b32_e32 v86, v48, v70
	v_cndmask_b32_e64 v30, 0, 1, vcc_lo
	v_cmp_ne_u32_e32 vcc_lo, v36, v62
	v_lshlrev_b32_e32 v44, v44, v84
	v_lshlrev_b32_e32 v46, v46, v85
	v_lshrrev_b32_e32 v87, v50, v72
	v_lshlrev_b32_e32 v48, v48, v86
	v_cndmask_b32_e64 v36, 0, 1, vcc_lo
	v_cmp_ne_u32_e32 vcc_lo, v42, v64
	v_lshrrev_b32_e32 v88, v52, v74
	v_lshlrev_b32_e32 v50, v50, v87
	v_or_b32_e32 v78, 0x1000, v28
	v_lshrrev_b32_e32 v89, v54, v76
	v_cndmask_b32_e64 v42, 0, 1, vcc_lo
	v_cmp_ne_u32_e32 vcc_lo, v44, v66
	v_lshlrev_b32_e32 v52, v52, v88
	v_lshrrev_b32_e32 v90, v56, v78
	v_lshlrev_b32_e32 v54, v54, v89
	v_or_b32_e32 v30, v81, v30
	v_cndmask_b32_e64 v44, 0, 1, vcc_lo
	v_cmp_ne_u32_e32 vcc_lo, v46, v68
	v_lshlrev_b32_e32 v56, v56, v90
	v_or_b32_e32 v36, v82, v36
	v_or_b32_e32 v42, v83, v42
	;; [unrolled: 1-line block ×3, first 2 shown]
	v_cndmask_b32_e64 v46, 0, 1, vcc_lo
	v_cmp_ne_u32_e32 vcc_lo, v48, v70
	v_add_nc_u32_e32 v57, 0xfffffc10, v57
	v_lshl_or_b32 v0, v0, 9, 0x7c00
	v_lshl_or_b32 v9, v9, 9, 0x7c00
	v_or_b32_e32 v46, v85, v46
	v_cndmask_b32_e64 v48, 0, 1, vcc_lo
	v_cmp_ne_u32_e32 vcc_lo, v50, v72
	v_lshl_or_b32 v79, v57, 12, v28
	v_lshl_or_b32 v14, v14, 9, 0x7c00
	;; [unrolled: 1-line block ×3, first 2 shown]
	v_or_b32_e32 v48, v86, v48
	v_cndmask_b32_e64 v50, 0, 1, vcc_lo
	v_cmp_ne_u32_e32 vcc_lo, v52, v74
	v_lshl_or_b32 v18, v18, 9, 0x7c00
	v_lshl_or_b32 v20, v20, 9, 0x7c00
	v_lshrrev_b32_e32 v10, 16, v10
	v_or_b32_e32 v50, v87, v50
	v_cndmask_b32_e64 v52, 0, 1, vcc_lo
	v_cmp_ne_u32_e32 vcc_lo, v54, v76
	v_lshrrev_b32_e32 v15, 16, v15
	v_lshrrev_b32_e32 v19, 16, v19
	v_lshl_or_b32 v22, v22, 9, 0x7c00
	v_or_b32_e32 v52, v88, v52
	v_cndmask_b32_e64 v54, 0, 1, vcc_lo
	v_cmp_ne_u32_e32 vcc_lo, v56, v78
	v_lshrrev_b32_e32 v17, 16, v17
	v_lshrrev_b32_e32 v21, 16, v21
	v_lshl_or_b32 v24, v24, 9, 0x7c00
	v_or_b32_e32 v54, v89, v54
	v_cndmask_b32_e64 v56, 0, 1, vcc_lo
	v_cmp_gt_i32_e32 vcc_lo, 1, v34
	v_lshl_or_b32 v26, v26, 9, 0x7c00
	v_or_b32_e32 v80, 0x1000, v32
	v_lshrrev_b32_e32 v27, 16, v27
	v_or_b32_e32 v56, v90, v56
	v_cndmask_b32_e32 v30, v61, v30, vcc_lo
	v_cmp_gt_i32_e32 vcc_lo, 1, v37
	v_lshrrev_b32_e32 v23, 16, v23
	v_lshrrev_b32_e32 v25, 16, v25
	v_and_or_b32 v2, 0x1ff, v3, v2
	v_and_b32_e32 v60, 7, v30
	v_cndmask_b32_e32 v36, v63, v36, vcc_lo
	v_cmp_gt_i32_e32 vcc_lo, 1, v43
	v_lshrrev_b32_e32 v30, 2, v30
	v_cmp_eq_u32_e64 s0, 3, v60
	v_and_b32_e32 v61, 7, v36
	v_cndmask_b32_e32 v42, v65, v42, vcc_lo
	v_cmp_gt_i32_e32 vcc_lo, 1, v45
	v_lshrrev_b32_e32 v36, 2, v36
	v_cmp_lt_i32_e64 s1, 5, v61
	v_and_b32_e32 v62, 7, v42
	v_cndmask_b32_e32 v44, v67, v44, vcc_lo
	v_cmp_gt_i32_e32 vcc_lo, 1, v47
	v_cmp_eq_u32_e64 s2, 3, v61
	v_lshrrev_b32_e32 v42, 2, v42
	v_cmp_lt_i32_e64 s3, 5, v62
	v_and_b32_e32 v63, 7, v44
	v_cndmask_b32_e32 v46, v69, v46, vcc_lo
	v_cmp_gt_i32_e32 vcc_lo, 1, v49
	v_cmp_eq_u32_e64 s4, 3, v62
	;; [unrolled: 6-line block ×6, first 2 shown]
	v_lshrrev_b32_e32 v52, 2, v52
	v_cmp_lt_i32_e64 s13, 5, v67
	v_and_b32_e32 v68, 7, v54
	v_cndmask_b32_e32 v56, v79, v56, vcc_lo
	v_cmp_lt_i32_e32 vcc_lo, 5, v60
	v_cmp_eq_u32_e64 s14, 3, v67
	v_lshrrev_b32_e32 v54, 2, v54
	v_cmp_lt_i32_e64 s15, 5, v68
	v_cmp_eq_u32_e64 s16, 3, v68
	s_or_b32 vcc_lo, s0, vcc_lo
	v_and_b32_e32 v69, 7, v56
	v_add_co_ci_u32_e32 v30, vcc_lo, 0, v30, vcc_lo
	s_or_b32 vcc_lo, s2, s1
	v_lshrrev_b32_e32 v56, 2, v56
	v_add_co_ci_u32_e32 v36, vcc_lo, 0, v36, vcc_lo
	s_or_b32 vcc_lo, s4, s3
	v_cmp_lt_i32_e64 s17, 5, v69
	v_add_co_ci_u32_e32 v42, vcc_lo, 0, v42, vcc_lo
	s_or_b32 vcc_lo, s6, s5
	v_cmp_eq_u32_e64 s18, 3, v69
	v_add_co_ci_u32_e32 v44, vcc_lo, 0, v44, vcc_lo
	s_or_b32 vcc_lo, s8, s7
	v_add_co_ci_u32_e32 v46, vcc_lo, 0, v46, vcc_lo
	s_or_b32 vcc_lo, s10, s9
	;; [unrolled: 2-line block ×5, first 2 shown]
	v_add_co_ci_u32_e32 v54, vcc_lo, 0, v54, vcc_lo
	v_cmp_gt_i32_e32 vcc_lo, 31, v34
	v_cndmask_b32_e32 v30, 0x7c00, v30, vcc_lo
	v_cmp_gt_i32_e32 vcc_lo, 31, v37
	v_cndmask_b32_e32 v36, 0x7c00, v36, vcc_lo
	;; [unrolled: 2-line block ×9, first 2 shown]
	v_cmp_eq_u32_e32 vcc_lo, 0x40f, v34
	v_cndmask_b32_e32 v0, v30, v0, vcc_lo
	v_cmp_eq_u32_e32 vcc_lo, 0x40f, v37
	v_and_or_b32 v0, 0x8000, v35, v0
	v_cndmask_b32_e32 v9, v36, v9, vcc_lo
	v_cmp_eq_u32_e32 vcc_lo, 0x40f, v43
	v_and_b32_e32 v0, 0xffff, v0
	v_and_or_b32 v9, 0x8000, v10, v9
	v_cndmask_b32_e32 v14, v42, v14, vcc_lo
	v_cmp_eq_u32_e32 vcc_lo, 0x40f, v45
	v_lshl_or_b32 v0, v9, 16, v0
	v_and_or_b32 v10, 0x8000, v15, v14
	v_cndmask_b32_e32 v16, v44, v16, vcc_lo
	v_cmp_eq_u32_e32 vcc_lo, 0x40f, v47
	v_and_b32_e32 v10, 0xffff, v10
	v_and_or_b32 v14, 0x8000, v17, v16
	v_cndmask_b32_e32 v18, v46, v18, vcc_lo
	v_cmp_eq_u32_e32 vcc_lo, 0x40f, v49
	v_lshl_or_b32 v9, v14, 16, v10
	v_and_or_b32 v15, 0x8000, v19, v18
	v_cndmask_b32_e32 v20, v48, v20, vcc_lo
	v_cmp_eq_u32_e32 vcc_lo, 0x40f, v51
	v_add_nc_u32_e32 v19, 0xfffffc10, v59
	v_and_b32_e32 v15, 0xffff, v15
	v_and_or_b32 v16, 0x8000, v21, v20
	v_cndmask_b32_e32 v22, v50, v22, vcc_lo
	v_cmp_eq_u32_e32 vcc_lo, 0x40f, v53
	v_lshl_or_b32 v10, v16, 16, v15
	global_store_dword v[12:13], v0, off
	global_store_dword v[38:39], v9, off
	global_store_dword v[40:41], v10, off
	v_cndmask_b32_e32 v24, v52, v24, vcc_lo
	v_cmp_eq_u32_e32 vcc_lo, 0x40f, v55
	v_lshrrev_b32_e32 v12, v58, v80
	s_waitcnt vmcnt(3)
	v_mul_f16_sdwa v10, v11, v5 dst_sel:DWORD dst_unused:UNUSED_PAD src0_sel:DWORD src1_sel:WORD_1
	v_and_or_b32 v17, 0x8000, v23, v22
	v_and_or_b32 v18, 0x8000, v25, v24
	v_cndmask_b32_e32 v14, v54, v26, vcc_lo
	s_or_b32 vcc_lo, s18, s17
	v_fmac_f16_e32 v10, v1, v5
	v_add_co_ci_u32_e32 v0, vcc_lo, 0, v56, vcc_lo
	v_cmp_ne_u32_e32 vcc_lo, 0, v28
	v_and_or_b32 v13, 0x8000, v27, v14
	v_lshlrev_b32_e32 v14, v58, v12
	v_and_b32_e32 v17, 0xffff, v17
	v_lshrrev_b32_e32 v15, 16, v29
	v_cndmask_b32_e64 v9, 0, 1, vcc_lo
	v_cmp_gt_i32_e32 vcc_lo, 31, v57
	v_lshrrev_b32_e32 v16, 8, v3
	v_lshl_or_b32 v18, v18, 16, v17
	v_bfe_u32 v17, v3, 20, 11
	v_lshl_or_b32 v9, v9, 9, 0x7c00
	v_cndmask_b32_e32 v0, 0x7c00, v0, vcc_lo
	v_cmp_eq_u32_e32 vcc_lo, 0x40f, v57
	global_load_dword v20, v31, s[20:21] offset:1200
	v_mul_f16_sdwa v24, v1, v5 dst_sel:DWORD dst_unused:UNUSED_PAD src0_sel:DWORD src1_sel:WORD_1
	v_cndmask_b32_e32 v0, v0, v9, vcc_lo
	v_cmp_ne_u32_e32 vcc_lo, v14, v80
	v_cvt_f32_f16_e32 v9, v10
	v_fma_f16 v5, v5, v11, -v24
	v_and_or_b32 v0, 0x8000, v15, v0
	v_cndmask_b32_e64 v14, 0, 1, vcc_lo
	v_cmp_ne_u32_e32 vcc_lo, 0, v2
	v_cvt_f64_f32_e32 v[9:10], v9
	v_sub_nc_u32_e32 v15, 0x3f1, v17
	v_cvt_f32_f16_e32 v5, v5
	v_or_b32_e32 v12, v12, v14
	v_cndmask_b32_e64 v2, 0, 1, vcc_lo
	v_lshl_or_b32 v14, v19, 12, v32
	v_cmp_gt_i32_e32 vcc_lo, 1, v19
	v_med3_i32 v15, v15, 0, 13
	v_and_or_b32 v2, 0xffe, v16, v2
	v_and_b32_e32 v16, 0xffff, v13
	v_cndmask_b32_e32 v14, v14, v12, vcc_lo
	v_add_co_u32 v12, vcc_lo, v40, s19
	v_or_b32_e32 v21, 0x1000, v2
	v_add_co_ci_u32_e32 v13, vcc_lo, s24, v41, vcc_lo
	v_lshl_or_b32 v22, v0, 16, v16
	v_and_b32_e32 v16, 7, v14
	v_lshrrev_b32_e32 v23, v15, v21
	v_add_co_u32 v0, vcc_lo, v12, s19
	v_mul_f64 v[9:10], v[9:10], s[22:23]
	v_add_co_ci_u32_e32 v1, vcc_lo, s24, v13, vcc_lo
	v_lshlrev_b32_e32 v15, v15, v23
	v_cmp_lt_i32_e32 vcc_lo, 5, v16
	v_cmp_eq_u32_e64 s0, 3, v16
	v_lshrrev_b32_e32 v11, 2, v14
	v_cmp_ne_u32_e64 s1, v15, v21
	v_add_nc_u32_e32 v21, 0xfffffc10, v17
	s_or_b32 vcc_lo, s0, vcc_lo
	ds_read2_b32 v[16:17], v4 offset0:210 offset1:240
	v_add_co_ci_u32_e32 v11, vcc_lo, 0, v11, vcc_lo
	v_cndmask_b32_e64 v14, 0, 1, s1
	v_cmp_ne_u32_e32 vcc_lo, 0, v32
	global_store_dword v[12:13], v18, off
	global_store_dword v[0:1], v22, off
	v_add_nc_u32_e32 v4, 0x400, v4
	v_or_b32_e32 v23, v23, v14
	v_cvt_f64_f32_e32 v[14:15], v5
	v_lshl_or_b32 v5, v21, 12, v2
	v_cndmask_b32_e64 v24, 0, 1, vcc_lo
	v_cmp_gt_i32_e32 vcc_lo, 1, v21
	v_and_or_b32 v9, 0x1ff, v10, v9
	v_lshrrev_b32_e32 v25, 8, v10
	v_bfe_u32 v26, v10, 20, 11
	v_cndmask_b32_e32 v5, v5, v23, vcc_lo
	v_cmp_gt_i32_e32 vcc_lo, 31, v19
	v_lshl_or_b32 v23, v24, 9, 0x7c00
	v_and_b32_e32 v24, 7, v5
	v_cndmask_b32_e32 v11, 0x7c00, v11, vcc_lo
	v_cmp_ne_u32_e32 vcc_lo, 0, v9
	v_lshrrev_b32_e32 v5, 2, v5
	v_cmp_eq_u32_e64 s0, 3, v24
	v_cndmask_b32_e64 v9, 0, 1, vcc_lo
	v_cmp_eq_u32_e32 vcc_lo, 0x40f, v19
	v_mul_f64 v[14:15], v[14:15], s[22:23]
	v_lshrrev_b32_e32 v19, 16, v33
	v_and_or_b32 v9, 0xffe, v25, v9
	v_cndmask_b32_e32 v11, v11, v23, vcc_lo
	v_cmp_lt_i32_e32 vcc_lo, 5, v24
	v_sub_nc_u32_e32 v23, 0x3f1, v26
	s_waitcnt lgkmcnt(0)
	v_lshrrev_b32_e32 v25, 16, v16
	v_or_b32_e32 v24, 0x1000, v9
	v_and_or_b32 v11, 0x8000, v19, v11
	s_or_b32 vcc_lo, s0, vcc_lo
	v_med3_i32 v23, v23, 0, 13
	v_add_co_ci_u32_e32 v5, vcc_lo, 0, v5, vcc_lo
	v_cmp_ne_u32_e32 vcc_lo, 0, v2
	s_waitcnt vmcnt(3)
	v_mul_f16_sdwa v27, v25, v6 dst_sel:DWORD dst_unused:UNUSED_PAD src0_sel:DWORD src1_sel:WORD_1
	v_lshrrev_b32_e32 v28, v23, v24
	v_and_b32_e32 v11, 0xffff, v11
	v_cndmask_b32_e64 v2, 0, 1, vcc_lo
	v_cmp_gt_i32_e32 vcc_lo, 31, v21
	v_lshlrev_b32_e32 v19, v23, v28
	v_fmac_f16_e32 v27, v16, v6
	v_and_or_b32 v14, 0x1ff, v15, v14
	v_lshl_or_b32 v2, v2, 9, 0x7c00
	v_cndmask_b32_e32 v5, 0x7c00, v5, vcc_lo
	v_cmp_eq_u32_e32 vcc_lo, 0x40f, v21
	v_cvt_f32_f16_e32 v23, v27
	v_lshrrev_b32_e32 v21, 16, v3
	v_mul_f16_sdwa v16, v16, v6 dst_sel:DWORD dst_unused:UNUSED_PAD src0_sel:DWORD src1_sel:WORD_1
	v_cndmask_b32_e32 v5, v5, v2, vcc_lo
	v_cmp_ne_u32_e32 vcc_lo, v19, v24
	v_cvt_f64_f32_e32 v[2:3], v23
	v_add_nc_u32_e32 v23, 0xfffffc10, v26
	v_lshrrev_b32_e32 v24, 8, v15
	v_bfe_u32 v26, v15, 20, 11
	v_cndmask_b32_e64 v19, 0, 1, vcc_lo
	v_cmp_ne_u32_e32 vcc_lo, 0, v14
	v_and_or_b32 v5, 0x8000, v21, v5
	v_lshl_or_b32 v21, v23, 12, v9
	v_fma_f16 v6, v6, v25, -v16
	v_or_b32_e32 v19, v28, v19
	v_cndmask_b32_e64 v14, 0, 1, vcc_lo
	v_cmp_gt_i32_e32 vcc_lo, 1, v23
	v_lshl_or_b32 v11, v5, 16, v11
	v_add_nc_u32_e32 v16, 0xfffffc10, v26
	v_and_or_b32 v14, 0xffe, v24, v14
	v_sub_nc_u32_e32 v24, 0x3f1, v26
	v_cndmask_b32_e32 v19, v21, v19, vcc_lo
	v_add_co_u32 v0, vcc_lo, v0, s19
	v_or_b32_e32 v21, 0x1000, v14
	v_med3_i32 v24, v24, 0, 13
	v_and_b32_e32 v5, 7, v19
	v_mul_f64 v[2:3], v[2:3], s[22:23]
	v_add_co_ci_u32_e32 v1, vcc_lo, s24, v1, vcc_lo
	v_lshrrev_b32_e32 v12, v24, v21
	v_cmp_lt_i32_e32 vcc_lo, 5, v5
	v_cmp_eq_u32_e64 s0, 3, v5
	v_lshrrev_b32_e32 v5, 2, v19
	global_store_dword v[0:1], v11, off
	v_lshlrev_b32_e32 v13, v24, v12
	v_lshrrev_b32_e32 v24, 16, v10
	s_or_b32 vcc_lo, s0, vcc_lo
	v_add_co_ci_u32_e32 v18, vcc_lo, 0, v5, vcc_lo
	v_cmp_ne_u32_e64 s1, v13, v21
	v_cvt_f32_f16_e32 v5, v6
	v_cmp_ne_u32_e32 vcc_lo, 0, v9
	v_cndmask_b32_e64 v13, 0, 1, s1
	v_cvt_f64_f32_e32 v[5:6], v5
	v_cndmask_b32_e64 v9, 0, 1, vcc_lo
	v_cmp_gt_i32_e32 vcc_lo, 1, v16
	v_and_or_b32 v2, 0x1ff, v3, v2
	v_or_b32_e32 v12, v12, v13
	v_lshl_or_b32 v13, v16, 12, v14
	v_lshl_or_b32 v9, v9, 9, 0x7c00
	v_lshrrev_b32_e32 v19, 8, v3
	v_bfe_u32 v21, v3, 20, 11
	v_lshrrev_b32_e32 v3, 16, v3
	v_cndmask_b32_e32 v12, v13, v12, vcc_lo
	v_cmp_gt_i32_e32 vcc_lo, 31, v23
	v_cndmask_b32_e32 v13, 0x7c00, v18, vcc_lo
	v_cmp_ne_u32_e32 vcc_lo, 0, v2
	v_and_b32_e32 v18, 7, v12
	v_lshrrev_b32_e32 v12, 2, v12
	v_cndmask_b32_e64 v2, 0, 1, vcc_lo
	v_cmp_eq_u32_e32 vcc_lo, 0x40f, v23
	v_cmp_eq_u32_e64 s0, 3, v18
	v_mul_f64 v[5:6], v[5:6], s[22:23]
	v_and_or_b32 v2, 0xffe, v19, v2
	v_cndmask_b32_e32 v13, v13, v9, vcc_lo
	v_cmp_lt_i32_e32 vcc_lo, 5, v18
	v_lshrrev_b32_e32 v18, 16, v17
	v_sub_nc_u32_e32 v9, 0x3f1, v21
	v_or_b32_e32 v19, 0x1000, v2
	v_and_or_b32 v13, 0x8000, v24, v13
	s_or_b32 vcc_lo, s0, vcc_lo
	s_waitcnt vmcnt(2)
	v_mul_f16_sdwa v22, v18, v8 dst_sel:DWORD dst_unused:UNUSED_PAD src0_sel:DWORD src1_sel:WORD_1
	v_add_co_ci_u32_e32 v12, vcc_lo, 0, v12, vcc_lo
	v_med3_i32 v9, v9, 0, 13
	v_cmp_ne_u32_e32 vcc_lo, 0, v14
	v_fmac_f16_e32 v22, v17, v8
	v_and_b32_e32 v13, 0xffff, v13
	v_lshrrev_b32_e32 v23, v9, v19
	v_cndmask_b32_e64 v14, 0, 1, vcc_lo
	v_cmp_gt_i32_e32 vcc_lo, 31, v16
	v_cvt_f32_f16_e32 v10, v22
	v_and_or_b32 v5, 0x1ff, v6, v5
	v_lshlrev_b32_e32 v22, v9, v23
	v_lshl_or_b32 v14, v14, 9, 0x7c00
	v_cndmask_b32_e32 v12, 0x7c00, v12, vcc_lo
	v_cmp_eq_u32_e32 vcc_lo, 0x40f, v16
	v_cvt_f64_f32_e32 v[9:10], v10
	v_add_nc_u32_e32 v16, 0xfffffc10, v21
	v_bfe_u32 v21, v6, 20, 11
	v_cndmask_b32_e32 v12, v12, v14, vcc_lo
	v_cmp_ne_u32_e32 vcc_lo, v22, v19
	v_lshrrev_b32_e32 v14, 16, v15
	v_lshrrev_b32_e32 v19, 8, v6
	;; [unrolled: 1-line block ×3, first 2 shown]
	v_cndmask_b32_e64 v15, 0, 1, vcc_lo
	v_cmp_ne_u32_e32 vcc_lo, 0, v5
	v_and_or_b32 v12, 0x8000, v14, v12
	v_or_b32_e32 v14, v23, v15
	v_lshl_or_b32 v15, v16, 12, v2
	v_cndmask_b32_e64 v5, 0, 1, vcc_lo
	v_cmp_gt_i32_e32 vcc_lo, 1, v16
	v_mul_f64 v[9:10], v[9:10], s[22:23]
	v_cndmask_b32_e32 v14, v15, v14, vcc_lo
	v_and_or_b32 v15, 0xffe, v19, v5
	v_sub_nc_u32_e32 v5, 0x3f1, v21
	v_lshl_or_b32 v19, v12, 16, v13
	v_add_co_u32 v0, vcc_lo, v0, s19
	v_or_b32_e32 v12, 0x1000, v15
	v_med3_i32 v5, v5, 0, 13
	v_and_b32_e32 v11, 7, v14
	v_mul_f16_sdwa v13, v17, v8 dst_sel:DWORD dst_unused:UNUSED_PAD src0_sel:DWORD src1_sel:WORD_1
	v_add_co_ci_u32_e32 v1, vcc_lo, s24, v1, vcc_lo
	v_lshrrev_b32_e32 v17, v5, v12
	v_cmp_lt_i32_e32 vcc_lo, 5, v11
	v_cmp_eq_u32_e64 s0, 3, v11
	v_lshrrev_b32_e32 v11, 2, v14
	v_fma_f16 v8, v8, v18, -v13
	v_lshlrev_b32_e32 v13, v5, v17
	ds_read2_b32 v[4:5], v4 offset0:14 offset1:44
	s_or_b32 vcc_lo, s0, vcc_lo
	v_add_nc_u32_e32 v18, 0xfffffc10, v21
	v_add_co_ci_u32_e32 v14, vcc_lo, 0, v11, vcc_lo
	v_cvt_f32_f16_e32 v8, v8
	v_cmp_ne_u32_e32 vcc_lo, v13, v12
	v_bfe_u32 v21, v10, 20, 11
	v_cvt_f64_f32_e32 v[11:12], v8
	v_cndmask_b32_e64 v13, 0, 1, vcc_lo
	v_and_or_b32 v8, 0x1ff, v10, v9
	v_cmp_gt_i32_e32 vcc_lo, 31, v16
	v_or_b32_e32 v9, v17, v13
	v_lshrrev_b32_e32 v17, 8, v10
	v_cndmask_b32_e32 v14, 0x7c00, v14, vcc_lo
	v_cmp_ne_u32_e32 vcc_lo, 0, v8
	v_lshl_or_b32 v13, v18, 12, v15
	s_waitcnt lgkmcnt(0)
	v_lshrrev_b32_e32 v22, 16, v4
	v_cndmask_b32_e64 v8, 0, 1, vcc_lo
	v_cmp_ne_u32_e32 vcc_lo, 0, v2
	v_and_or_b32 v17, 0xffe, v17, v8
	v_cndmask_b32_e64 v2, 0, 1, vcc_lo
	v_cmp_gt_i32_e32 vcc_lo, 1, v18
	v_sub_nc_u32_e32 v8, 0x3f1, v21
	v_add_nc_u32_e32 v21, 0xfffffc10, v21
	v_or_b32_e32 v24, 0x1000, v17
	v_lshl_or_b32 v2, v2, 9, 0x7c00
	v_cndmask_b32_e32 v13, v13, v9, vcc_lo
	v_cmp_eq_u32_e32 vcc_lo, 0x40f, v16
	v_med3_i32 v25, v8, 0, 13
	v_mul_f64 v[8:9], v[11:12], s[22:23]
	s_waitcnt vmcnt(1)
	v_mul_f16_sdwa v11, v22, v7 dst_sel:DWORD dst_unused:UNUSED_PAD src0_sel:DWORD src1_sel:WORD_1
	v_and_b32_e32 v23, 7, v13
	v_cndmask_b32_e32 v2, v14, v2, vcc_lo
	v_lshrrev_b32_e32 v12, v25, v24
	v_fmac_f16_e32 v11, v4, v7
	v_cmp_lt_i32_e32 vcc_lo, 5, v23
	v_cmp_eq_u32_e64 s0, 3, v23
	v_and_or_b32 v14, 0x8000, v3, v2
	v_lshrrev_b32_e32 v2, 2, v13
	v_lshlrev_b32_e32 v3, v25, v12
	v_cvt_f32_f16_e32 v11, v11
	s_or_b32 vcc_lo, s0, vcc_lo
	v_mul_f16_sdwa v4, v4, v7 dst_sel:DWORD dst_unused:UNUSED_PAD src0_sel:DWORD src1_sel:WORD_1
	v_add_co_ci_u32_e32 v13, vcc_lo, 0, v2, vcc_lo
	v_cmp_ne_u32_e32 vcc_lo, v3, v24
	v_cvt_f64_f32_e32 v[2:3], v11
	v_fma_f16 v4, v7, v22, -v4
	v_cndmask_b32_e64 v16, 0, 1, vcc_lo
	v_cmp_ne_u32_e32 vcc_lo, 0, v15
	v_lshl_or_b32 v15, v21, 12, v17
	v_and_or_b32 v8, 0x1ff, v9, v8
	v_cvt_f32_f16_e32 v4, v4
	v_or_b32_e32 v12, v12, v16
	v_cndmask_b32_e64 v11, 0, 1, vcc_lo
	v_cmp_gt_i32_e32 vcc_lo, 31, v18
	v_bfe_u32 v16, v9, 20, 11
	v_lshl_or_b32 v11, v11, 9, 0x7c00
	v_cndmask_b32_e32 v13, 0x7c00, v13, vcc_lo
	v_cmp_gt_i32_e32 vcc_lo, 1, v21
	v_cndmask_b32_e32 v12, v15, v12, vcc_lo
	v_cmp_ne_u32_e32 vcc_lo, 0, v8
	v_lshrrev_b32_e32 v15, 8, v9
	v_mul_f64 v[2:3], v[2:3], s[22:23]
	v_and_b32_e32 v23, 7, v12
	v_cndmask_b32_e64 v8, 0, 1, vcc_lo
	v_cmp_eq_u32_e32 vcc_lo, 0x40f, v18
	v_cmp_eq_u32_e64 s0, 3, v23
	v_and_or_b32 v8, 0xffe, v15, v8
	v_cndmask_b32_e32 v11, v13, v11, vcc_lo
	v_sub_nc_u32_e32 v13, 0x3f1, v16
	v_cmp_lt_i32_e32 vcc_lo, 5, v23
	v_or_b32_e32 v15, 0x1000, v8
	v_and_or_b32 v6, 0x8000, v6, v11
	v_lshrrev_b32_e32 v11, 2, v12
	v_med3_i32 v13, v13, 0, 13
	s_or_b32 vcc_lo, s0, vcc_lo
	v_and_b32_e32 v12, 0xffff, v14
	v_add_co_ci_u32_e32 v11, vcc_lo, 0, v11, vcc_lo
	v_lshrrev_b32_e32 v14, v13, v15
	v_cmp_ne_u32_e32 vcc_lo, 0, v17
	v_lshl_or_b32 v18, v6, 16, v12
	v_and_or_b32 v2, 0x1ff, v3, v2
	v_lshlrev_b32_e32 v6, v13, v14
	v_cndmask_b32_e64 v17, 0, 1, vcc_lo
	v_cmp_gt_i32_e32 vcc_lo, 31, v21
	v_lshl_or_b32 v12, v17, 9, 0x7c00
	v_cndmask_b32_e32 v11, 0x7c00, v11, vcc_lo
	v_cmp_ne_u32_e32 vcc_lo, v6, v15
	v_add_nc_u32_e32 v15, 0xfffffc10, v16
	v_bfe_u32 v16, v3, 20, 11
	v_cndmask_b32_e64 v6, 0, 1, vcc_lo
	v_cmp_eq_u32_e32 vcc_lo, 0x40f, v21
	v_lshl_or_b32 v13, v15, 12, v8
	v_cndmask_b32_e32 v12, v11, v12, vcc_lo
	v_cmp_ne_u32_e32 vcc_lo, 0, v2
	v_or_b32_e32 v11, v14, v6
	v_lshrrev_b32_e32 v14, 8, v3
	v_cvt_f64_f32_e32 v[6:7], v4
	v_lshrrev_b32_e32 v3, 16, v3
	v_cndmask_b32_e64 v2, 0, 1, vcc_lo
	v_cmp_gt_i32_e32 vcc_lo, 1, v15
	v_and_or_b32 v2, 0xffe, v14, v2
	v_cndmask_b32_e32 v4, v13, v11, vcc_lo
	v_sub_nc_u32_e32 v11, 0x3f1, v16
	v_lshrrev_b32_e32 v14, 16, v5
	v_lshrrev_b32_e32 v13, 16, v10
	v_or_b32_e32 v21, 0x1000, v2
	v_and_b32_e32 v17, 7, v4
	v_med3_i32 v22, v11, 0, 13
	s_waitcnt vmcnt(0)
	v_mul_f16_sdwa v23, v14, v20 dst_sel:DWORD dst_unused:UNUSED_PAD src0_sel:DWORD src1_sel:WORD_1
	v_add_co_u32 v10, vcc_lo, v0, s19
	v_add_co_ci_u32_e32 v11, vcc_lo, s24, v1, vcc_lo
	v_lshrrev_b32_e32 v25, v22, v21
	v_cmp_lt_i32_e32 vcc_lo, 5, v17
	v_cmp_eq_u32_e64 s0, 3, v17
	v_fmac_f16_e32 v23, v5, v20
	v_lshrrev_b32_e32 v4, 2, v4
	v_lshlrev_b32_e32 v17, v22, v25
	v_and_or_b32 v24, 0x8000, v13, v12
	s_or_b32 vcc_lo, s0, vcc_lo
	v_cvt_f32_f16_e32 v12, v23
	v_add_co_ci_u32_e32 v4, vcc_lo, 0, v4, vcc_lo
	v_mul_f64 v[6:7], v[6:7], s[22:23]
	v_cmp_ne_u32_e32 vcc_lo, v17, v21
	v_cvt_f64_f32_e32 v[12:13], v12
	v_add_nc_u32_e32 v16, 0xfffffc10, v16
	v_mul_f16_sdwa v5, v5, v20 dst_sel:DWORD dst_unused:UNUSED_PAD src0_sel:DWORD src1_sel:WORD_1
	v_cndmask_b32_e64 v17, 0, 1, vcc_lo
	v_cmp_ne_u32_e32 vcc_lo, 0, v8
	v_lshl_or_b32 v21, v16, 12, v2
	v_fma_f16 v5, v20, v14, -v5
	v_or_b32_e32 v17, v25, v17
	v_cndmask_b32_e64 v8, 0, 1, vcc_lo
	v_cmp_gt_i32_e32 vcc_lo, 31, v15
	v_cvt_f32_f16_e32 v5, v5
	v_lshl_or_b32 v8, v8, 9, 0x7c00
	v_cndmask_b32_e32 v4, 0x7c00, v4, vcc_lo
	v_cmp_gt_i32_e32 vcc_lo, 1, v16
	v_and_or_b32 v6, 0x1ff, v7, v6
	v_cndmask_b32_e32 v14, v21, v17, vcc_lo
	v_cmp_eq_u32_e32 vcc_lo, 0x40f, v15
	v_lshrrev_b32_e32 v17, 16, v9
	v_and_b32_e32 v20, 7, v14
	v_cndmask_b32_e32 v15, v4, v8, vcc_lo
	v_mul_f64 v[8:9], v[12:13], s[22:23]
	v_cvt_f64_f32_e32 v[4:5], v5
	v_cmp_ne_u32_e32 vcc_lo, 0, v6
	v_lshrrev_b32_e32 v12, 8, v7
	v_bfe_u32 v13, v7, 20, 11
	v_cmp_eq_u32_e64 s0, 3, v20
	v_lshrrev_b32_e32 v14, 2, v14
	v_cndmask_b32_e64 v6, 0, 1, vcc_lo
	v_cmp_lt_i32_e32 vcc_lo, 5, v20
	v_and_or_b32 v15, 0x8000, v17, v15
	v_and_b32_e32 v17, 0xffff, v24
	v_lshrrev_b32_e32 v7, 16, v7
	v_and_or_b32 v6, 0xffe, v12, v6
	v_sub_nc_u32_e32 v12, 0x3f1, v13
	s_or_b32 vcc_lo, s0, vcc_lo
	v_lshl_or_b32 v15, v15, 16, v17
	v_add_co_ci_u32_e32 v14, vcc_lo, 0, v14, vcc_lo
	v_or_b32_e32 v17, 0x1000, v6
	v_med3_i32 v12, v12, 0, 13
	v_cmp_ne_u32_e32 vcc_lo, 0, v2
	v_add_nc_u32_e32 v13, 0xfffffc10, v13
	v_and_or_b32 v8, 0x1ff, v9, v8
	v_mul_f64 v[4:5], v[4:5], s[22:23]
	v_lshrrev_b32_e32 v20, v12, v17
	v_cndmask_b32_e64 v2, 0, 1, vcc_lo
	v_cmp_gt_i32_e32 vcc_lo, 31, v16
	v_lshrrev_b32_e32 v21, 8, v9
	v_bfe_u32 v22, v9, 20, 11
	v_lshlrev_b32_e32 v12, v12, v20
	v_lshl_or_b32 v2, v2, 9, 0x7c00
	v_cndmask_b32_e32 v14, 0x7c00, v14, vcc_lo
	v_cmp_ne_u32_e32 vcc_lo, 0, v8
	v_lshrrev_b32_e32 v9, 16, v9
	v_cndmask_b32_e64 v8, 0, 1, vcc_lo
	v_cmp_ne_u32_e32 vcc_lo, v12, v17
	v_sub_nc_u32_e32 v17, 0x3f1, v22
	v_and_or_b32 v8, 0xffe, v21, v8
	v_cndmask_b32_e64 v12, 0, 1, vcc_lo
	v_cmp_eq_u32_e32 vcc_lo, 0x40f, v16
	v_med3_i32 v17, v17, 0, 13
	v_and_or_b32 v4, 0x1ff, v5, v4
	v_or_b32_e32 v16, 0x1000, v8
	v_or_b32_e32 v12, v20, v12
	v_cndmask_b32_e32 v2, v14, v2, vcc_lo
	v_lshl_or_b32 v14, v13, 12, v6
	v_cmp_gt_i32_e32 vcc_lo, 1, v13
	v_lshrrev_b32_e32 v20, 8, v5
	v_bfe_u32 v21, v5, 20, 11
	v_and_or_b32 v2, 0x8000, v3, v2
	v_lshrrev_b32_e32 v5, 16, v5
	v_cndmask_b32_e32 v12, v14, v12, vcc_lo
	v_lshrrev_b32_e32 v14, v17, v16
	v_cmp_ne_u32_e32 vcc_lo, 0, v4
	v_and_b32_e32 v23, 7, v12
	v_lshlrev_b32_e32 v17, v17, v14
	v_cndmask_b32_e64 v4, 0, 1, vcc_lo
	v_lshrrev_b32_e32 v12, 2, v12
	v_cmp_lt_i32_e32 vcc_lo, 5, v23
	v_cmp_ne_u32_e64 s0, v17, v16
	v_and_or_b32 v3, 0xffe, v20, v4
	v_sub_nc_u32_e32 v4, 0x3f1, v21
	v_add_nc_u32_e32 v20, 0xfffffc10, v22
	v_cndmask_b32_e64 v16, 0, 1, s0
	v_cmp_eq_u32_e64 s0, 3, v23
	v_or_b32_e32 v17, 0x1000, v3
	v_med3_i32 v4, v4, 0, 13
	v_lshl_or_b32 v22, v20, 12, v8
	v_or_b32_e32 v14, v14, v16
	s_or_b32 vcc_lo, s0, vcc_lo
	v_add_co_ci_u32_e32 v12, vcc_lo, 0, v12, vcc_lo
	v_lshrrev_b32_e32 v16, v4, v17
	v_cmp_gt_i32_e32 vcc_lo, 1, v20
	v_lshlrev_b32_e32 v4, v4, v16
	v_cndmask_b32_e32 v14, v22, v14, vcc_lo
	v_cmp_ne_u32_e32 vcc_lo, 0, v6
	v_cndmask_b32_e64 v6, 0, 1, vcc_lo
	v_cmp_ne_u32_e32 vcc_lo, v4, v17
	v_add_nc_u32_e32 v17, 0xfffffc10, v21
	v_and_b32_e32 v21, 7, v14
	v_lshl_or_b32 v6, v6, 9, 0x7c00
	v_cndmask_b32_e64 v4, 0, 1, vcc_lo
	v_cmp_gt_i32_e32 vcc_lo, 31, v13
	v_cmp_gt_i32_e64 s1, 1, v17
	v_cmp_eq_u32_e64 s0, 3, v21
	v_or_b32_e32 v4, v16, v4
	v_lshl_or_b32 v16, v17, 12, v3
	v_cndmask_b32_e32 v12, 0x7c00, v12, vcc_lo
	v_cmp_lt_i32_e32 vcc_lo, 5, v21
	v_cndmask_b32_e64 v4, v16, v4, s1
	v_cmp_eq_u32_e64 s1, 0x40f, v13
	s_or_b32 vcc_lo, s0, vcc_lo
	v_and_b32_e32 v13, 7, v4
	v_cndmask_b32_e64 v6, v12, v6, s1
	v_lshrrev_b32_e32 v12, 2, v14
	v_lshrrev_b32_e32 v4, 2, v4
	v_cmp_gt_i32_e64 s1, 31, v20
	v_cmp_eq_u32_e64 s0, 3, v13
	v_and_or_b32 v6, 0x8000, v7, v6
	v_add_co_ci_u32_e32 v12, vcc_lo, 0, v12, vcc_lo
	v_cmp_ne_u32_e32 vcc_lo, 0, v8
	v_and_b32_e32 v7, 0xffff, v2
	v_cndmask_b32_e64 v12, 0x7c00, v12, s1
	v_cndmask_b32_e64 v8, 0, 1, vcc_lo
	v_cmp_lt_i32_e32 vcc_lo, 5, v13
	v_lshl_or_b32 v8, v8, 9, 0x7c00
	s_or_b32 vcc_lo, s0, vcc_lo
	v_add_co_ci_u32_e32 v4, vcc_lo, 0, v4, vcc_lo
	v_cmp_ne_u32_e32 vcc_lo, 0, v3
	v_cndmask_b32_e64 v3, 0, 1, vcc_lo
	v_cmp_eq_u32_e32 vcc_lo, 0x40f, v20
	v_lshl_or_b32 v3, v3, 9, 0x7c00
	v_cndmask_b32_e32 v8, v12, v8, vcc_lo
	v_cmp_gt_i32_e32 vcc_lo, 31, v17
	v_and_or_b32 v8, 0x8000, v9, v8
	v_cndmask_b32_e32 v4, 0x7c00, v4, vcc_lo
	v_cmp_eq_u32_e32 vcc_lo, 0x40f, v17
	v_lshl_or_b32 v9, v6, 16, v7
	v_and_b32_e32 v7, 0xffff, v8
	v_cndmask_b32_e32 v4, v4, v3, vcc_lo
	v_add_co_u32 v2, vcc_lo, v10, s19
	v_add_co_ci_u32_e32 v3, vcc_lo, s24, v11, vcc_lo
	v_and_or_b32 v6, 0x8000, v5, v4
	v_add_co_u32 v4, vcc_lo, v2, s19
	v_add_co_ci_u32_e32 v5, vcc_lo, s24, v3, vcc_lo
	v_lshl_or_b32 v8, v6, 16, v7
	v_add_co_u32 v6, vcc_lo, v4, s19
	v_add_co_ci_u32_e32 v7, vcc_lo, s24, v5, vcc_lo
	global_store_dword v[0:1], v19, off
	global_store_dword v[10:11], v18, off
	;; [unrolled: 1-line block ×5, first 2 shown]
.LBB0_23:
	s_endpgm
	.section	.rodata,"a",@progbits
	.p2align	6, 0x0
	.amdhsa_kernel bluestein_single_back_len330_dim1_half_op_CI_CI
		.amdhsa_group_segment_fixed_size 3960
		.amdhsa_private_segment_fixed_size 0
		.amdhsa_kernarg_size 104
		.amdhsa_user_sgpr_count 6
		.amdhsa_user_sgpr_private_segment_buffer 1
		.amdhsa_user_sgpr_dispatch_ptr 0
		.amdhsa_user_sgpr_queue_ptr 0
		.amdhsa_user_sgpr_kernarg_segment_ptr 1
		.amdhsa_user_sgpr_dispatch_id 0
		.amdhsa_user_sgpr_flat_scratch_init 0
		.amdhsa_user_sgpr_private_segment_size 0
		.amdhsa_wavefront_size32 1
		.amdhsa_uses_dynamic_stack 0
		.amdhsa_system_sgpr_private_segment_wavefront_offset 0
		.amdhsa_system_sgpr_workgroup_id_x 1
		.amdhsa_system_sgpr_workgroup_id_y 0
		.amdhsa_system_sgpr_workgroup_id_z 0
		.amdhsa_system_sgpr_workgroup_info 0
		.amdhsa_system_vgpr_workitem_id 0
		.amdhsa_next_free_vgpr 134
		.amdhsa_next_free_sgpr 25
		.amdhsa_reserve_vcc 1
		.amdhsa_reserve_flat_scratch 0
		.amdhsa_float_round_mode_32 0
		.amdhsa_float_round_mode_16_64 0
		.amdhsa_float_denorm_mode_32 3
		.amdhsa_float_denorm_mode_16_64 3
		.amdhsa_dx10_clamp 1
		.amdhsa_ieee_mode 1
		.amdhsa_fp16_overflow 0
		.amdhsa_workgroup_processor_mode 1
		.amdhsa_memory_ordered 1
		.amdhsa_forward_progress 0
		.amdhsa_shared_vgpr_count 0
		.amdhsa_exception_fp_ieee_invalid_op 0
		.amdhsa_exception_fp_denorm_src 0
		.amdhsa_exception_fp_ieee_div_zero 0
		.amdhsa_exception_fp_ieee_overflow 0
		.amdhsa_exception_fp_ieee_underflow 0
		.amdhsa_exception_fp_ieee_inexact 0
		.amdhsa_exception_int_div_zero 0
	.end_amdhsa_kernel
	.text
.Lfunc_end0:
	.size	bluestein_single_back_len330_dim1_half_op_CI_CI, .Lfunc_end0-bluestein_single_back_len330_dim1_half_op_CI_CI
                                        ; -- End function
	.section	.AMDGPU.csdata,"",@progbits
; Kernel info:
; codeLenInByte = 17636
; NumSgprs: 27
; NumVgprs: 134
; ScratchSize: 0
; MemoryBound: 0
; FloatMode: 240
; IeeeMode: 1
; LDSByteSize: 3960 bytes/workgroup (compile time only)
; SGPRBlocks: 3
; VGPRBlocks: 16
; NumSGPRsForWavesPerEU: 27
; NumVGPRsForWavesPerEU: 134
; Occupancy: 7
; WaveLimiterHint : 1
; COMPUTE_PGM_RSRC2:SCRATCH_EN: 0
; COMPUTE_PGM_RSRC2:USER_SGPR: 6
; COMPUTE_PGM_RSRC2:TRAP_HANDLER: 0
; COMPUTE_PGM_RSRC2:TGID_X_EN: 1
; COMPUTE_PGM_RSRC2:TGID_Y_EN: 0
; COMPUTE_PGM_RSRC2:TGID_Z_EN: 0
; COMPUTE_PGM_RSRC2:TIDIG_COMP_CNT: 0
	.text
	.p2alignl 6, 3214868480
	.fill 48, 4, 3214868480
	.type	__hip_cuid_a5e12e54578c4f53,@object ; @__hip_cuid_a5e12e54578c4f53
	.section	.bss,"aw",@nobits
	.globl	__hip_cuid_a5e12e54578c4f53
__hip_cuid_a5e12e54578c4f53:
	.byte	0                               ; 0x0
	.size	__hip_cuid_a5e12e54578c4f53, 1

	.ident	"AMD clang version 19.0.0git (https://github.com/RadeonOpenCompute/llvm-project roc-6.4.0 25133 c7fe45cf4b819c5991fe208aaa96edf142730f1d)"
	.section	".note.GNU-stack","",@progbits
	.addrsig
	.addrsig_sym __hip_cuid_a5e12e54578c4f53
	.amdgpu_metadata
---
amdhsa.kernels:
  - .args:
      - .actual_access:  read_only
        .address_space:  global
        .offset:         0
        .size:           8
        .value_kind:     global_buffer
      - .actual_access:  read_only
        .address_space:  global
        .offset:         8
        .size:           8
        .value_kind:     global_buffer
      - .actual_access:  read_only
        .address_space:  global
        .offset:         16
        .size:           8
        .value_kind:     global_buffer
      - .actual_access:  read_only
        .address_space:  global
        .offset:         24
        .size:           8
        .value_kind:     global_buffer
      - .actual_access:  read_only
        .address_space:  global
        .offset:         32
        .size:           8
        .value_kind:     global_buffer
      - .offset:         40
        .size:           8
        .value_kind:     by_value
      - .address_space:  global
        .offset:         48
        .size:           8
        .value_kind:     global_buffer
      - .address_space:  global
        .offset:         56
        .size:           8
        .value_kind:     global_buffer
      - .address_space:  global
        .offset:         64
        .size:           8
        .value_kind:     global_buffer
      - .address_space:  global
        .offset:         72
        .size:           8
        .value_kind:     global_buffer
      - .offset:         80
        .size:           4
        .value_kind:     by_value
      - .address_space:  global
        .offset:         88
        .size:           8
        .value_kind:     global_buffer
      - .address_space:  global
        .offset:         96
        .size:           8
        .value_kind:     global_buffer
    .group_segment_fixed_size: 3960
    .kernarg_segment_align: 8
    .kernarg_segment_size: 104
    .language:       OpenCL C
    .language_version:
      - 2
      - 0
    .max_flat_workgroup_size: 99
    .name:           bluestein_single_back_len330_dim1_half_op_CI_CI
    .private_segment_fixed_size: 0
    .sgpr_count:     27
    .sgpr_spill_count: 0
    .symbol:         bluestein_single_back_len330_dim1_half_op_CI_CI.kd
    .uniform_work_group_size: 1
    .uses_dynamic_stack: false
    .vgpr_count:     134
    .vgpr_spill_count: 0
    .wavefront_size: 32
    .workgroup_processor_mode: 1
amdhsa.target:   amdgcn-amd-amdhsa--gfx1030
amdhsa.version:
  - 1
  - 2
...

	.end_amdgpu_metadata
